;; amdgpu-corpus repo=ROCm/rocFFT kind=compiled arch=gfx906 opt=O3
	.text
	.amdgcn_target "amdgcn-amd-amdhsa--gfx906"
	.amdhsa_code_object_version 6
	.protected	bluestein_single_fwd_len1008_dim1_sp_op_CI_CI ; -- Begin function bluestein_single_fwd_len1008_dim1_sp_op_CI_CI
	.globl	bluestein_single_fwd_len1008_dim1_sp_op_CI_CI
	.p2align	8
	.type	bluestein_single_fwd_len1008_dim1_sp_op_CI_CI,@function
bluestein_single_fwd_len1008_dim1_sp_op_CI_CI: ; @bluestein_single_fwd_len1008_dim1_sp_op_CI_CI
; %bb.0:
	s_load_dwordx4 s[16:19], s[4:5], 0x28
	v_mul_u32_u24_e32 v1, 0x493, v0
	v_add_u32_sdwa v114, s6, v1 dst_sel:DWORD dst_unused:UNUSED_PAD src0_sel:DWORD src1_sel:WORD_1
	v_mov_b32_e32 v115, 0
	s_waitcnt lgkmcnt(0)
	v_cmp_gt_u64_e32 vcc, s[16:17], v[114:115]
	s_and_saveexec_b64 s[0:1], vcc
	s_cbranch_execz .LBB0_10
; %bb.1:
	s_load_dwordx4 s[8:11], s[4:5], 0x18
	s_load_dwordx4 s[12:15], s[4:5], 0x0
	v_mov_b32_e32 v2, 56
	v_mul_lo_u16_sdwa v1, v1, v2 dst_sel:DWORD dst_unused:UNUSED_PAD src0_sel:WORD_1 src1_sel:DWORD
	v_sub_u16_e32 v162, v0, v1
	s_waitcnt lgkmcnt(0)
	s_load_dwordx4 s[0:3], s[8:9], 0x0
	v_lshlrev_b32_e32 v159, 3, v162
	global_load_dwordx2 v[127:128], v159, s[12:13]
	v_mov_b32_e32 v9, s13
	s_movk_i32 s16, 0x1000
	s_waitcnt lgkmcnt(0)
	v_mad_u64_u32 v[0:1], s[6:7], s2, v114, 0
	v_mad_u64_u32 v[2:3], s[6:7], s0, v162, 0
	s_mul_hi_u32 s7, s0, 0xfffff200
	s_mul_i32 s6, s1, 0xfffff200
	v_mad_u64_u32 v[4:5], s[2:3], s3, v114, v[1:2]
	s_sub_i32 s7, s7, s0
	s_add_i32 s7, s7, s6
	v_mad_u64_u32 v[5:6], s[2:3], s1, v162, v[3:4]
	v_mov_b32_e32 v1, v4
	v_lshlrev_b64 v[0:1], 3, v[0:1]
	v_mov_b32_e32 v6, s19
	v_mov_b32_e32 v3, v5
	v_add_co_u32_e32 v37, vcc, s18, v0
	v_addc_co_u32_e32 v38, vcc, v6, v1, vcc
	v_lshlrev_b64 v[0:1], 3, v[2:3]
	s_mul_i32 s2, s1, 0xfc0
	v_add_co_u32_e32 v0, vcc, v37, v0
	s_mul_hi_u32 s3, s0, 0xfc0
	v_addc_co_u32_e32 v1, vcc, v38, v1, vcc
	s_add_i32 s2, s3, s2
	s_mul_i32 s3, s0, 0xfc0
	v_mov_b32_e32 v3, s2
	v_add_co_u32_e32 v2, vcc, s3, v0
	v_addc_co_u32_e32 v3, vcc, v1, v3, vcc
	s_mul_i32 s6, s0, 0xfffff200
	global_load_dwordx2 v[4:5], v[0:1], off
	global_load_dwordx2 v[6:7], v[2:3], off
	global_load_dwordx2 v[121:122], v159, s[12:13] offset:4032
	v_mov_b32_e32 v1, s7
	v_add_co_u32_e32 v0, vcc, s6, v2
	v_addc_co_u32_e32 v1, vcc, v3, v1, vcc
	global_load_dwordx2 v[2:3], v[0:1], off
	global_load_dwordx2 v[119:120], v159, s[12:13] offset:448
	v_add_co_u32_e32 v8, vcc, 56, v162
	v_add_co_u32_e32 v10, vcc, s12, v159
	v_addc_co_u32_e32 v11, vcc, 0, v9, vcc
	v_add_co_u32_e32 v9, vcc, s16, v10
	v_addc_co_u32_e32 v10, vcc, 0, v11, vcc
	v_mov_b32_e32 v11, s2
	v_add_co_u32_e32 v0, vcc, s3, v0
	v_addc_co_u32_e32 v1, vcc, v1, v11, vcc
	s_load_dwordx4 s[8:11], s[10:11], 0x0
	global_load_dwordx2 v[115:116], v159, s[12:13] offset:896
	global_load_dwordx2 v[110:111], v159, s[12:13] offset:1344
	;; [unrolled: 1-line block ×3, first 2 shown]
	v_mov_b32_e32 v13, s7
	global_load_dwordx2 v[11:12], v[0:1], off
	v_add_co_u32_e32 v0, vcc, s6, v0
	v_addc_co_u32_e32 v1, vcc, v1, v13, vcc
	v_mov_b32_e32 v15, s2
	global_load_dwordx2 v[13:14], v[0:1], off
	v_add_co_u32_e32 v0, vcc, s3, v0
	v_addc_co_u32_e32 v1, vcc, v1, v15, vcc
	;; [unrolled: 4-line block ×3, first 2 shown]
	global_load_dwordx2 v[141:142], v[9:10], off offset:384
	v_mov_b32_e32 v19, s7
	v_or_b32_e32 v161, 0x380, v162
	v_or_b32_e32 v160, 0x1c0, v162
	v_mov_b32_e32 v21, s7
	v_lshlrev_b32_e32 v168, 3, v161
	v_lshlrev_b32_e32 v163, 4, v162
	v_lshlrev_b32_e32 v164, 4, v8
	v_lshlrev_b32_e32 v170, 4, v160
                                        ; implicit-def: $vgpr157
                                        ; implicit-def: $vgpr106
	s_waitcnt vmcnt(11)
	v_mul_f32_e32 v17, v5, v128
	v_mul_f32_e32 v18, v4, v128
	v_fmac_f32_e32 v17, v4, v127
	v_fma_f32 v18, v5, v127, -v18
	s_waitcnt vmcnt(9)
	v_mul_f32_e32 v4, v7, v122
	v_mul_f32_e32 v5, v6, v122
	v_fmac_f32_e32 v4, v6, v121
	v_fma_f32 v5, v7, v121, -v5
	s_waitcnt vmcnt(7)
	v_mul_f32_e32 v6, v3, v120
	v_mul_f32_e32 v7, v2, v120
	ds_write_b64 v159, v[4:5] offset:4032
	v_fmac_f32_e32 v6, v2, v119
	v_fma_f32 v7, v3, v119, -v7
	global_load_dwordx2 v[2:3], v[0:1], off
	v_mov_b32_e32 v4, s2
	v_add_co_u32_e32 v0, vcc, s3, v0
	v_addc_co_u32_e32 v1, vcc, v1, v4, vcc
	ds_write2_b64 v159, v[17:18], v[6:7] offset1:56
	global_load_dwordx2 v[4:5], v[0:1], off
	v_mov_b32_e32 v6, s7
	v_add_co_u32_e32 v0, vcc, s6, v0
	v_addc_co_u32_e32 v1, vcc, v1, v6, vcc
	global_load_dwordx2 v[6:7], v[0:1], off
	global_load_dwordx2 v[137:138], v159, s[12:13] offset:1792
	v_mov_b32_e32 v17, s2
	v_add_co_u32_e32 v0, vcc, s3, v0
	v_addc_co_u32_e32 v1, vcc, v1, v17, vcc
	global_load_dwordx2 v[17:18], v[0:1], off
	global_load_dwordx2 v[143:144], v[9:10], off offset:832
	global_load_dwordx2 v[139:140], v[9:10], off offset:1280
	;; [unrolled: 1-line block ×3, first 2 shown]
	v_add_co_u32_e32 v0, vcc, s6, v0
	v_addc_co_u32_e32 v1, vcc, v1, v19, vcc
	global_load_dwordx2 v[22:23], v[0:1], off
	v_mov_b32_e32 v19, s2
	v_add_co_u32_e32 v0, vcc, s3, v0
	v_addc_co_u32_e32 v1, vcc, v1, v19, vcc
	global_load_dwordx2 v[27:28], v[0:1], off
	v_mov_b32_e32 v19, s7
	;; [unrolled: 4-line block ×3, first 2 shown]
	v_add_co_u32_e32 v0, vcc, s3, v0
	v_addc_co_u32_e32 v1, vcc, v1, v19, vcc
	v_mad_u64_u32 v[19:20], s[2:3], s0, v161, 0
	global_load_dwordx2 v[31:32], v[0:1], off
	global_load_dwordx2 v[131:132], v[9:10], off offset:2176
	global_load_dwordx2 v[125:126], v[9:10], off offset:2624
	v_add_co_u32_e32 v0, vcc, s6, v0
	v_mad_u64_u32 v[24:25], s[2:3], s0, v160, 0
	v_addc_co_u32_e32 v1, vcc, v1, v21, vcc
	v_mad_u64_u32 v[20:21], s[2:3], s1, v161, v[20:21]
	v_mov_b32_e32 v21, v25
	global_load_dwordx2 v[133:134], v159, s[12:13] offset:2240
	v_lshlrev_b64 v[19:20], 3, v[19:20]
	global_load_dwordx2 v[33:34], v[0:1], off
	global_load_dwordx2 v[129:130], v159, s[12:13] offset:2688
	global_load_dwordx2 v[123:124], v159, s[12:13] offset:3136
	v_add_co_u32_e32 v19, vcc, v37, v19
	v_addc_co_u32_e32 v20, vcc, v38, v20, vcc
	global_load_dwordx2 v[35:36], v[19:20], off
	global_load_dwordx2 v[117:118], v168, s[12:13]
	s_waitcnt vmcnt(11)
	v_mad_u64_u32 v[25:26], s[2:3], s1, v160, v[21:22]
	v_mov_b32_e32 v21, 0x1180
	v_mad_u64_u32 v[0:1], s[2:3], s0, v21, v[0:1]
	v_lshlrev_b64 v[19:20], 3, v[24:25]
	s_mul_i32 s0, s1, 0x1180
	v_add_co_u32_e32 v19, vcc, v37, v19
	v_addc_co_u32_e32 v20, vcc, v38, v20, vcc
	global_load_dwordx2 v[37:38], v[19:20], off
	v_add_u32_e32 v1, s0, v1
	global_load_dwordx2 v[39:40], v[0:1], off
	global_load_dwordx2 v[112:113], v[9:10], off offset:3520
	v_mul_f32_e32 v24, v12, v142
	v_mul_f32_e32 v0, v11, v142
	;; [unrolled: 1-line block ×4, first 2 shown]
	v_fmac_f32_e32 v24, v11, v141
	v_fma_f32 v25, v12, v141, -v0
	v_fmac_f32_e32 v9, v15, v143
	v_fma_f32 v10, v16, v143, -v10
	v_add_u32_e32 v21, 0x1000, v159
	ds_write2_b64 v21, v[24:25], v[9:10] offset0:48 offset1:104
	v_mul_f32_e32 v9, v3, v111
	v_mul_f32_e32 v0, v14, v116
	;; [unrolled: 1-line block ×3, first 2 shown]
	v_fmac_f32_e32 v9, v2, v110
	v_mul_f32_e32 v2, v2, v111
	v_fmac_f32_e32 v0, v13, v115
	v_fma_f32 v1, v14, v115, -v1
	v_fma_f32 v10, v3, v110, -v2
	ds_write2_b64 v159, v[0:1], v[9:10] offset0:112 offset1:168
	v_mul_f32_e32 v0, v5, v140
	v_mul_f32_e32 v1, v4, v140
	v_fmac_f32_e32 v0, v4, v139
	v_fma_f32 v1, v5, v139, -v1
	v_mul_f32_e32 v4, v18, v136
	v_mul_f32_e32 v5, v17, v136
	v_fmac_f32_e32 v4, v17, v135
	v_fma_f32 v5, v18, v135, -v5
	v_mul_f32_e32 v2, v7, v138
	v_mul_f32_e32 v3, v6, v138
	ds_write2_b64 v21, v[0:1], v[4:5] offset0:160 offset1:216
	s_waitcnt vmcnt(8)
	v_mul_f32_e32 v0, v23, v134
	v_mul_f32_e32 v1, v22, v134
	v_fmac_f32_e32 v2, v6, v137
	v_fma_f32 v3, v7, v137, -v3
	v_fmac_f32_e32 v0, v22, v133
	v_fma_f32 v1, v23, v133, -v1
	v_add_u32_e32 v24, 0x400, v159
	ds_write2_b64 v24, v[2:3], v[0:1] offset0:96 offset1:152
	v_mul_f32_e32 v0, v28, v132
	v_mul_f32_e32 v1, v27, v132
	;; [unrolled: 1-line block ×4, first 2 shown]
	v_fmac_f32_e32 v0, v27, v131
	v_fma_f32 v1, v28, v131, -v1
	v_fmac_f32_e32 v4, v31, v125
	v_fma_f32 v5, v32, v125, -v5
	v_add_u32_e32 v22, 0x1800, v159
	s_waitcnt vmcnt(6)
	v_mul_f32_e32 v2, v30, v130
	v_mul_f32_e32 v3, v29, v130
	ds_write2_b64 v22, v[0:1], v[4:5] offset0:16 offset1:72
	s_waitcnt vmcnt(5)
	v_mul_f32_e32 v4, v34, v124
	v_mul_f32_e32 v1, v33, v124
	v_fmac_f32_e32 v2, v29, v129
	v_fma_f32 v3, v30, v129, -v3
	v_fmac_f32_e32 v4, v33, v123
	v_fma_f32 v5, v34, v123, -v1
	v_add_u32_e32 v23, 0x800, v159
	ds_write2_b64 v23, v[2:3], v[4:5] offset0:80 offset1:136
	s_waitcnt vmcnt(3)
	v_mul_f32_e32 v1, v36, v118
	v_mul_f32_e32 v2, v35, v118
	v_fmac_f32_e32 v1, v35, v117
	v_fma_f32 v2, v36, v117, -v2
	s_movk_i32 s1, 0xa8
	v_add_co_u32_e32 v16, vcc, s1, v162
	s_movk_i32 s1, 0xe0
	s_movk_i32 s0, 0x70
	v_add_co_u32_e32 v26, vcc, s1, v162
	s_movk_i32 s1, 0x118
	v_add_co_u32_e32 v20, vcc, s0, v162
	v_add_co_u32_e32 v25, vcc, s1, v162
	v_lshlrev_b32_e32 v0, 1, v162
	v_lshlrev_b32_e32 v165, 4, v20
	v_lshlrev_b32_e32 v166, 4, v16
	s_waitcnt vmcnt(2)
	v_mul_f32_e32 v3, v38, v109
	v_mul_f32_e32 v4, v37, v109
	v_fmac_f32_e32 v3, v37, v108
	v_fma_f32 v4, v38, v108, -v4
	ds_write_b64 v159, v[3:4] offset:3584
	s_waitcnt vmcnt(0)
	v_mul_f32_e32 v3, v40, v113
	v_mul_f32_e32 v4, v39, v113
	v_fmac_f32_e32 v3, v39, v112
	v_fma_f32 v4, v40, v112, -v4
	ds_write2_b64 v22, v[1:2], v[3:4] offset0:128 offset1:184
	s_waitcnt lgkmcnt(0)
	; wave barrier
	s_waitcnt lgkmcnt(0)
	ds_read2_b64 v[1:4], v159 offset1:56
	ds_read2_b64 v[9:12], v23 offset0:192 offset1:248
	ds_read2_b64 v[27:30], v21 offset0:48 offset1:104
	;; [unrolled: 1-line block ×8, first 2 shown]
	s_waitcnt lgkmcnt(7)
	v_sub_f32_e32 v13, v1, v11
	s_waitcnt lgkmcnt(3)
	v_sub_f32_e32 v57, v39, v37
	v_sub_f32_e32 v58, v40, v38
	;; [unrolled: 1-line block ×9, first 2 shown]
	v_fma_f32 v55, v39, 2.0, -v57
	v_fma_f32 v56, v40, 2.0, -v58
	s_waitcnt lgkmcnt(2)
	v_sub_f32_e32 v39, v41, v43
	v_sub_f32_e32 v40, v42, v44
	s_waitcnt lgkmcnt(1)
	v_sub_f32_e32 v43, v47, v45
	v_sub_f32_e32 v44, v48, v46
	v_fma_f32 v11, v1, 2.0, -v13
	v_fma_f32 v12, v2, 2.0, -v14
	;; [unrolled: 1-line block ×12, first 2 shown]
	s_waitcnt lgkmcnt(0)
	v_sub_f32_e32 v47, v49, v51
	v_sub_f32_e32 v48, v50, v52
	;; [unrolled: 1-line block ×4, first 2 shown]
	v_lshlrev_b32_e32 v167, 4, v26
	v_lshlrev_b32_e32 v169, 4, v25
	;; [unrolled: 1-line block ×3, first 2 shown]
	v_and_b32_e32 v7, 1, v162
	v_fma_f32 v45, v49, 2.0, -v47
	v_fma_f32 v46, v50, 2.0, -v48
	;; [unrolled: 1-line block ×4, first 2 shown]
	s_waitcnt lgkmcnt(0)
	; wave barrier
	ds_write_b128 v163, v[11:14]
	ds_write_b128 v164, v[3:6]
	;; [unrolled: 1-line block ×6, first 2 shown]
	ds_write_b128 v1, v[41:44] offset:5376
	ds_write_b128 v1, v[45:48] offset:6272
	v_lshlrev_b32_e32 v1, 3, v7
	ds_write_b128 v170, v[49:52]
	s_waitcnt lgkmcnt(0)
	; wave barrier
	s_waitcnt lgkmcnt(0)
	global_load_dwordx2 v[145:146], v1, s[14:15]
	ds_read2_b64 v[9:12], v159 offset1:56
	ds_read2_b64 v[27:30], v23 offset0:192 offset1:248
	ds_read2_b64 v[31:34], v21 offset0:48 offset1:104
	ds_read2_b64 v[35:38], v159 offset0:112 offset1:168
	ds_read2_b64 v[39:42], v21 offset0:160 offset1:216
	ds_read2_b64 v[43:46], v24 offset0:96 offset1:152
	ds_read2_b64 v[47:50], v22 offset0:16 offset1:72
	ds_read2_b64 v[51:54], v23 offset0:80 offset1:136
	ds_read2_b64 v[55:58], v22 offset0:128 offset1:184
	s_movk_i32 s1, 0x7c
	v_lshlrev_b32_e32 v6, 1, v8
	v_lshlrev_b32_e32 v5, 1, v20
	s_waitcnt lgkmcnt(0)
	; wave barrier
	s_waitcnt lgkmcnt(0)
	v_lshlrev_b32_e32 v4, 1, v16
	v_lshlrev_b32_e32 v3, 1, v26
	;; [unrolled: 1-line block ×3, first 2 shown]
	s_movk_i32 s2, 0x2fc
	v_add_u32_e32 v212, 0x2a0, v0
	v_add_u32_e32 v213, 0x310, v0
	v_lshlrev_b32_e32 v1, 1, v160
	s_waitcnt vmcnt(0)
	v_mul_f32_e32 v17, v34, v146
	v_mul_f32_e32 v14, v29, v146
	v_fma_f32 v19, v33, v145, -v17
	v_mul_f32_e32 v17, v40, v146
	v_mul_f32_e32 v13, v30, v146
	v_fmac_f32_e32 v14, v30, v145
	v_mul_f32_e32 v30, v33, v146
	v_fma_f32 v33, v39, v145, -v17
	v_mul_f32_e32 v17, v42, v146
	v_fmac_f32_e32 v30, v34, v145
	v_mul_f32_e32 v34, v39, v146
	v_fma_f32 v39, v41, v145, -v17
	;; [unrolled: 4-line block ×3, first 2 shown]
	v_mul_f32_e32 v17, v50, v146
	v_mul_f32_e32 v15, v32, v146
	v_fmac_f32_e32 v40, v42, v145
	v_mul_f32_e32 v42, v47, v146
	v_fma_f32 v47, v49, v145, -v17
	v_mul_f32_e32 v17, v56, v146
	v_fma_f32 v13, v29, v145, -v13
	v_fma_f32 v15, v31, v145, -v15
	v_fmac_f32_e32 v42, v48, v145
	v_mul_f32_e32 v48, v49, v146
	v_fma_f32 v49, v55, v145, -v17
	v_mul_f32_e32 v17, v58, v146
	v_fmac_f32_e32 v48, v50, v145
	v_mul_f32_e32 v50, v55, v146
	v_fma_f32 v55, v57, v145, -v17
	v_sub_f32_e32 v13, v9, v13
	v_sub_f32_e32 v14, v10, v14
	;; [unrolled: 1-line block ×3, first 2 shown]
	v_and_or_b32 v15, v0, s1, v7
	v_fma_f32 v9, v9, 2.0, -v13
	v_fma_f32 v10, v10, 2.0, -v14
	v_lshlrev_b32_e32 v171, 3, v15
	s_movk_i32 s1, 0xfc
	ds_write2_b64 v171, v[9:10], v[13:14] offset1:2
	v_and_or_b32 v9, v6, s1, v7
	s_movk_i32 s1, 0x1fc
	v_lshlrev_b32_e32 v172, 3, v9
	v_and_or_b32 v9, v5, s1, v7
	v_lshlrev_b32_e32 v173, 3, v9
	v_and_or_b32 v9, v4, s1, v7
	s_movk_i32 s1, 0x3fc
	v_lshlrev_b32_e32 v174, 3, v9
	v_and_or_b32 v9, v3, s1, v7
	v_mul_f32_e32 v18, v31, v146
	v_sub_f32_e32 v29, v35, v19
	v_sub_f32_e32 v30, v36, v30
	;; [unrolled: 1-line block ×4, first 2 shown]
	v_lshlrev_b32_e32 v175, 3, v9
	v_and_or_b32 v9, v2, s2, v7
	v_fmac_f32_e32 v18, v32, v145
	v_fmac_f32_e32 v50, v56, v145
	v_mul_f32_e32 v56, v57, v146
	v_fma_f32 v31, v35, 2.0, -v29
	v_fma_f32 v32, v36, 2.0, -v30
	;; [unrolled: 1-line block ×4, first 2 shown]
	v_sub_f32_e32 v37, v43, v39
	v_sub_f32_e32 v38, v44, v40
	v_sub_f32_e32 v41, v45, v41
	v_sub_f32_e32 v42, v46, v42
	v_lshlrev_b32_e32 v176, 3, v9
	v_and_or_b32 v9, v212, s1, v7
	v_fmac_f32_e32 v56, v58, v145
	v_fma_f32 v39, v43, 2.0, -v37
	v_fma_f32 v40, v44, 2.0, -v38
	;; [unrolled: 1-line block ×4, first 2 shown]
	v_sub_f32_e32 v45, v51, v47
	v_sub_f32_e32 v46, v52, v48
	;; [unrolled: 1-line block ×4, first 2 shown]
	v_lshlrev_b32_e32 v177, 3, v9
	v_and_or_b32 v9, v213, s1, v7
	v_and_or_b32 v7, v1, s1, v7
	v_sub_f32_e32 v18, v12, v18
	v_fma_f32 v47, v51, 2.0, -v45
	v_fma_f32 v48, v52, 2.0, -v46
	;; [unrolled: 1-line block ×4, first 2 shown]
	v_sub_f32_e32 v53, v27, v55
	v_sub_f32_e32 v54, v28, v56
	v_lshlrev_b32_e32 v179, 3, v7
	v_and_b32_e32 v7, 3, v162
	v_fma_f32 v11, v11, 2.0, -v17
	v_fma_f32 v12, v12, 2.0, -v18
	;; [unrolled: 1-line block ×4, first 2 shown]
	v_lshlrev_b32_e32 v178, 3, v9
	v_lshlrev_b32_e32 v9, 3, v7
	ds_write2_b64 v172, v[11:12], v[17:18] offset1:2
	ds_write2_b64 v173, v[31:32], v[29:30] offset1:2
	;; [unrolled: 1-line block ×8, first 2 shown]
	s_waitcnt lgkmcnt(0)
	; wave barrier
	s_waitcnt lgkmcnt(0)
	global_load_dwordx2 v[147:148], v9, s[14:15] offset:16
	ds_read2_b64 v[9:12], v159 offset1:56
	ds_read2_b64 v[27:30], v23 offset0:192 offset1:248
	ds_read2_b64 v[31:34], v21 offset0:48 offset1:104
	;; [unrolled: 1-line block ×8, first 2 shown]
	s_movk_i32 s1, 0x78
	s_waitcnt lgkmcnt(0)
	; wave barrier
	s_waitcnt lgkmcnt(0)
	s_movk_i32 s2, 0x2f8
	s_waitcnt vmcnt(0)
	v_mul_f32_e32 v17, v34, v148
	v_mul_f32_e32 v14, v29, v148
	v_fma_f32 v19, v33, v147, -v17
	v_mul_f32_e32 v17, v40, v148
	v_mul_f32_e32 v13, v30, v148
	v_fmac_f32_e32 v14, v30, v147
	v_mul_f32_e32 v30, v33, v148
	v_fma_f32 v33, v39, v147, -v17
	v_mul_f32_e32 v17, v42, v148
	v_fmac_f32_e32 v30, v34, v147
	v_mul_f32_e32 v34, v39, v148
	v_fma_f32 v39, v41, v147, -v17
	v_mul_f32_e32 v17, v48, v148
	v_fmac_f32_e32 v34, v40, v147
	v_mul_f32_e32 v40, v41, v148
	v_fma_f32 v41, v47, v147, -v17
	v_mul_f32_e32 v17, v50, v148
	v_mul_f32_e32 v15, v32, v148
	v_fmac_f32_e32 v40, v42, v147
	v_mul_f32_e32 v42, v47, v148
	v_fma_f32 v47, v49, v147, -v17
	v_mul_f32_e32 v17, v56, v148
	v_fma_f32 v13, v29, v147, -v13
	v_fma_f32 v15, v31, v147, -v15
	v_fmac_f32_e32 v42, v48, v147
	v_mul_f32_e32 v48, v49, v148
	v_fma_f32 v49, v55, v147, -v17
	v_mul_f32_e32 v17, v58, v148
	v_fmac_f32_e32 v48, v50, v147
	v_mul_f32_e32 v50, v55, v148
	v_fma_f32 v55, v57, v147, -v17
	v_sub_f32_e32 v13, v9, v13
	v_sub_f32_e32 v14, v10, v14
	v_sub_f32_e32 v17, v11, v15
	v_and_or_b32 v15, v0, s1, v7
	v_fma_f32 v9, v9, 2.0, -v13
	v_fma_f32 v10, v10, 2.0, -v14
	v_lshlrev_b32_e32 v180, 3, v15
	s_movk_i32 s1, 0xf8
	ds_write2_b64 v180, v[9:10], v[13:14] offset1:4
	v_and_or_b32 v9, v6, s1, v7
	s_movk_i32 s1, 0x1f8
	v_lshlrev_b32_e32 v181, 3, v9
	v_and_or_b32 v9, v5, s1, v7
	v_lshlrev_b32_e32 v182, 3, v9
	v_and_or_b32 v9, v4, s1, v7
	s_movk_i32 s1, 0x3f8
	v_lshlrev_b32_e32 v183, 3, v9
	v_and_or_b32 v9, v3, s1, v7
	v_mul_f32_e32 v18, v31, v148
	v_sub_f32_e32 v29, v35, v19
	v_sub_f32_e32 v30, v36, v30
	;; [unrolled: 1-line block ×4, first 2 shown]
	v_lshlrev_b32_e32 v184, 3, v9
	v_and_or_b32 v9, v2, s2, v7
	v_fmac_f32_e32 v18, v32, v147
	v_fmac_f32_e32 v50, v56, v147
	v_mul_f32_e32 v56, v57, v148
	v_fma_f32 v31, v35, 2.0, -v29
	v_fma_f32 v32, v36, 2.0, -v30
	;; [unrolled: 1-line block ×4, first 2 shown]
	v_sub_f32_e32 v37, v43, v39
	v_sub_f32_e32 v38, v44, v40
	;; [unrolled: 1-line block ×4, first 2 shown]
	v_lshlrev_b32_e32 v185, 3, v9
	v_and_or_b32 v9, v212, s1, v7
	v_fmac_f32_e32 v56, v58, v147
	v_fma_f32 v39, v43, 2.0, -v37
	v_fma_f32 v40, v44, 2.0, -v38
	;; [unrolled: 1-line block ×4, first 2 shown]
	v_sub_f32_e32 v45, v51, v47
	v_sub_f32_e32 v46, v52, v48
	;; [unrolled: 1-line block ×4, first 2 shown]
	v_lshlrev_b32_e32 v186, 3, v9
	v_and_or_b32 v9, v213, s1, v7
	v_and_or_b32 v7, v1, s1, v7
	v_sub_f32_e32 v18, v12, v18
	v_fma_f32 v47, v51, 2.0, -v45
	v_fma_f32 v48, v52, 2.0, -v46
	;; [unrolled: 1-line block ×4, first 2 shown]
	v_sub_f32_e32 v53, v27, v55
	v_sub_f32_e32 v54, v28, v56
	v_lshlrev_b32_e32 v188, 3, v7
	v_and_b32_e32 v7, 7, v162
	v_fma_f32 v11, v11, 2.0, -v17
	v_fma_f32 v12, v12, 2.0, -v18
	;; [unrolled: 1-line block ×4, first 2 shown]
	v_lshlrev_b32_e32 v187, 3, v9
	v_lshlrev_b32_e32 v9, 3, v7
	ds_write2_b64 v181, v[11:12], v[17:18] offset1:4
	ds_write2_b64 v182, v[31:32], v[29:30] offset1:4
	;; [unrolled: 1-line block ×8, first 2 shown]
	s_waitcnt lgkmcnt(0)
	; wave barrier
	s_waitcnt lgkmcnt(0)
	global_load_dwordx2 v[149:150], v9, s[14:15] offset:48
	ds_read2_b64 v[9:12], v159 offset1:56
	ds_read2_b64 v[27:30], v23 offset0:192 offset1:248
	ds_read2_b64 v[31:34], v21 offset0:48 offset1:104
	;; [unrolled: 1-line block ×5, first 2 shown]
	v_and_or_b32 v0, v0, s0, v7
	s_movk_i32 s0, 0xf0
	v_lshlrev_b32_e32 v189, 3, v0
	v_and_or_b32 v0, v6, s0, v7
	s_movk_i32 s0, 0x1f0
	v_lshlrev_b32_e32 v190, 3, v0
	v_and_or_b32 v0, v5, s0, v7
	v_lshlrev_b32_e32 v191, 3, v0
	v_and_or_b32 v0, v4, s0, v7
	s_movk_i32 s0, 0x3f0
	v_lshlrev_b32_e32 v193, 3, v0
	v_and_or_b32 v0, v3, s0, v7
	s_movk_i32 s1, 0x2f0
	v_lshlrev_b32_e32 v194, 3, v0
	v_and_or_b32 v0, v2, s1, v7
	v_lshlrev_b32_e32 v195, 3, v0
	v_and_or_b32 v0, v212, s0, v7
	v_lshlrev_b32_e32 v196, 3, v0
	v_and_or_b32 v0, v213, s0, v7
	v_lshlrev_b32_e32 v197, 3, v0
	v_and_or_b32 v0, v1, s0, v7
	v_lshlrev_b32_e32 v198, 3, v0
	s_movk_i32 s0, 0xffd0
	s_load_dwordx2 s[2:3], s[4:5], 0x38
	s_waitcnt vmcnt(0) lgkmcnt(0)
	v_mul_f32_e32 v13, v30, v150
	v_mul_f32_e32 v14, v29, v150
	;; [unrolled: 1-line block ×5, first 2 shown]
	v_fma_f32 v13, v29, v149, -v13
	v_fmac_f32_e32 v14, v30, v149
	v_fma_f32 v15, v31, v149, -v15
	v_fmac_f32_e32 v19, v32, v149
	v_fma_f32 v47, v33, v149, -v17
	v_mul_f32_e32 v17, v36, v150
	ds_read2_b64 v[29:32], v159 offset0:112 offset1:168
	v_fma_f32 v49, v35, v149, -v17
	v_mul_f32_e32 v17, v38, v150
	v_fma_f32 v51, v37, v149, -v17
	v_mul_f32_e32 v17, v40, v150
	v_mul_f32_e32 v48, v33, v150
	;; [unrolled: 1-line block ×3, first 2 shown]
	v_fma_f32 v53, v39, v149, -v17
	v_mul_f32_e32 v17, v42, v150
	v_fmac_f32_e32 v48, v34, v149
	v_fmac_f32_e32 v50, v36, v149
	v_mul_f32_e32 v52, v37, v150
	v_mul_f32_e32 v54, v39, v150
	v_fma_f32 v55, v41, v149, -v17
	v_mul_f32_e32 v17, v44, v150
	v_fmac_f32_e32 v52, v38, v149
	v_fmac_f32_e32 v54, v40, v149
	v_mul_f32_e32 v56, v41, v150
	v_fma_f32 v57, v43, v149, -v17
	v_mul_f32_e32 v58, v43, v150
	v_mul_f32_e32 v17, v46, v150
	v_sub_f32_e32 v13, v9, v13
	v_sub_f32_e32 v14, v10, v14
	;; [unrolled: 1-line block ×4, first 2 shown]
	s_waitcnt lgkmcnt(0)
	v_sub_f32_e32 v37, v29, v47
	v_sub_f32_e32 v38, v30, v48
	;; [unrolled: 1-line block ×4, first 2 shown]
	v_fmac_f32_e32 v56, v42, v149
	v_fmac_f32_e32 v58, v44, v149
	v_fma_f32 v59, v45, v149, -v17
	v_fma_f32 v17, v9, 2.0, -v13
	v_fma_f32 v18, v10, 2.0, -v14
	;; [unrolled: 1-line block ×4, first 2 shown]
	ds_read2_b64 v[9:12], v24 offset0:96 offset1:152
	v_fma_f32 v41, v29, 2.0, -v37
	v_fma_f32 v42, v30, 2.0, -v38
	;; [unrolled: 1-line block ×4, first 2 shown]
	ds_read2_b64 v[29:32], v23 offset0:80 offset1:136
	v_mul_f32_e32 v60, v45, v150
	v_fmac_f32_e32 v60, v46, v149
	s_waitcnt lgkmcnt(1)
	v_sub_f32_e32 v45, v9, v51
	v_sub_f32_e32 v46, v10, v52
	;; [unrolled: 1-line block ×4, first 2 shown]
	s_waitcnt lgkmcnt(0)
	v_sub_f32_e32 v49, v29, v55
	v_sub_f32_e32 v50, v30, v56
	v_sub_f32_e32 v51, v31, v57
	v_sub_f32_e32 v52, v32, v58
	v_sub_f32_e32 v53, v27, v59
	v_sub_f32_e32 v54, v28, v60
	v_and_b32_e32 v15, 15, v162
	v_fma_f32 v9, v9, 2.0, -v45
	v_fma_f32 v10, v10, 2.0, -v46
	;; [unrolled: 1-line block ×10, first 2 shown]
	v_lshlrev_b32_e32 v0, 4, v15
	s_waitcnt lgkmcnt(0)
	; wave barrier
	ds_write2_b64 v189, v[17:18], v[13:14] offset1:8
	ds_write2_b64 v190, v[35:36], v[33:34] offset1:8
	;; [unrolled: 1-line block ×9, first 2 shown]
	s_waitcnt lgkmcnt(0)
	; wave barrier
	s_waitcnt lgkmcnt(0)
	global_load_dwordx4 v[0:3], v0, s[14:15] offset:112
	v_and_b32_e32 v35, 15, v25
	v_and_b32_e32 v19, 15, v8
	v_lshlrev_b32_e32 v5, 4, v35
	v_lshlrev_b32_e32 v4, 4, v19
	global_load_dwordx2 v[151:152], v5, s[14:15] offset:112
	global_load_dword v199, v4, s[14:15] offset:112
	global_load_dword v192, v5, s[14:15] offset:124
	global_load_dwordx2 v[153:154], v5, s[14:15] offset:120
	global_load_dwordx2 v[155:156], v5, s[14:15] offset:116
	v_and_b32_e32 v36, 15, v16
	v_lshlrev_b32_e32 v4, 4, v36
	global_load_dwordx4 v[4:7], v4, s[14:15] offset:112
	ds_read2_b64 v[9:12], v23 offset0:80 offset1:136
	ds_read2_b64 v[27:30], v21 offset0:160 offset1:216
	v_lshrrev_b32_e32 v59, 4, v162
	v_mul_u32_u24_e32 v59, 48, v59
	v_or_b32_e32 v59, v59, v15
	v_lshlrev_b32_e32 v200, 3, v59
	s_waitcnt vmcnt(6) lgkmcnt(1)
	v_mul_f32_e32 v13, v10, v1
	v_fma_f32 v17, v9, v0, -v13
	v_mul_f32_e32 v18, v9, v1
	s_waitcnt lgkmcnt(0)
	v_mul_f32_e32 v9, v28, v3
	v_fma_f32 v31, v27, v2, -v9
	s_waitcnt vmcnt(5)
	v_mul_f32_e32 v9, v12, v152
	v_mul_f32_e32 v38, v11, v152
	v_fmac_f32_e32 v18, v10, v0
	s_waitcnt vmcnt(4)
	v_fma_f32 v37, v11, v199, -v9
	v_fmac_f32_e32 v38, v12, v199
	ds_read2_b64 v[9:12], v23 offset0:192 offset1:248
	v_mul_f32_e32 v32, v27, v3
	s_waitcnt vmcnt(2)
	v_mul_f32_e32 v13, v30, v154
	v_mul_f32_e32 v40, v29, v154
	v_fmac_f32_e32 v32, v28, v2
	s_waitcnt vmcnt(1)
	v_fma_f32 v39, v29, v156, -v13
	v_fmac_f32_e32 v40, v30, v156
	ds_read2_b64 v[27:30], v22 offset0:16 offset1:72
	s_waitcnt lgkmcnt(1)
	v_mul_f32_e32 v13, v10, v1
	v_fma_f32 v41, v9, v0, -v13
	v_mul_f32_e32 v42, v9, v1
	s_waitcnt vmcnt(0)
	v_mul_f32_e32 v9, v12, v5
	v_fma_f32 v43, v11, v4, -v9
	v_mul_f32_e32 v44, v11, v5
	s_waitcnt lgkmcnt(0)
	v_mul_f32_e32 v9, v28, v3
	v_fmac_f32_e32 v42, v10, v0
	v_fmac_f32_e32 v44, v12, v4
	v_fma_f32 v45, v27, v2, -v9
	ds_read2_b64 v[9:12], v21 offset0:48 offset1:104
	v_mul_f32_e32 v46, v27, v3
	v_mul_f32_e32 v13, v30, v7
	;; [unrolled: 1-line block ×3, first 2 shown]
	v_fmac_f32_e32 v46, v28, v2
	v_fma_f32 v47, v29, v6, -v13
	v_fmac_f32_e32 v48, v30, v6
	ds_read2_b64 v[27:30], v22 offset0:128 offset1:184
	s_waitcnt lgkmcnt(1)
	v_mul_f32_e32 v13, v10, v1
	v_fma_f32 v49, v9, v0, -v13
	v_mul_f32_e32 v50, v9, v1
	v_mul_f32_e32 v9, v12, v155
	v_fma_f32 v51, v11, v151, -v9
	v_mul_f32_e32 v52, v11, v155
	s_waitcnt lgkmcnt(0)
	v_mul_f32_e32 v9, v28, v3
	v_fmac_f32_e32 v50, v10, v0
	v_fmac_f32_e32 v52, v12, v151
	v_fma_f32 v53, v27, v2, -v9
	ds_read2_b64 v[9:12], v159 offset1:56
	v_mul_f32_e32 v54, v27, v3
	v_mul_f32_e32 v13, v30, v192
	v_sub_f32_e32 v57, v18, v32
	v_add_f32_e32 v27, v17, v31
	s_waitcnt lgkmcnt(0)
	v_add_f32_e32 v14, v10, v18
	v_add_f32_e32 v18, v18, v32
	v_fma_f32 v55, v29, v153, -v13
	v_add_f32_e32 v13, v9, v17
	v_fma_f32 v9, -0.5, v27, v9
	v_fma_f32 v10, -0.5, v18, v10
	v_sub_f32_e32 v58, v17, v31
	v_mov_b32_e32 v17, v9
	v_mov_b32_e32 v18, v10
	v_mul_f32_e32 v56, v29, v192
	v_add_f32_e32 v13, v13, v31
	v_add_f32_e32 v14, v14, v32
	v_fmac_f32_e32 v17, 0x3f5db3d7, v57
	v_fmac_f32_e32 v18, 0xbf5db3d7, v58
	;; [unrolled: 1-line block ×6, first 2 shown]
	ds_read2_b64 v[27:30], v159 offset0:112 offset1:168
	ds_read2_b64 v[31:34], v24 offset0:96 offset1:152
	s_waitcnt lgkmcnt(0)
	; wave barrier
	s_waitcnt lgkmcnt(0)
	ds_write2_b64 v200, v[13:14], v[17:18] offset1:16
	ds_write_b64 v200, v[9:10] offset:256
	v_add_f32_e32 v10, v37, v39
	v_add_f32_e32 v13, v38, v40
	;; [unrolled: 1-line block ×3, first 2 shown]
	v_fma_f32 v11, -0.5, v10, v11
	v_add_f32_e32 v10, v12, v38
	v_fmac_f32_e32 v12, -0.5, v13
	v_lshrrev_b32_e32 v13, 4, v8
	v_mul_u32_u24_e32 v13, 48, v13
	v_sub_f32_e32 v17, v38, v40
	v_sub_f32_e32 v18, v37, v39
	v_or_b32_e32 v19, v13, v19
	v_mov_b32_e32 v13, v11
	v_mov_b32_e32 v14, v12
	v_lshlrev_b32_e32 v201, 3, v19
	v_fmac_f32_e32 v11, 0xbf5db3d7, v17
	v_fmac_f32_e32 v12, 0x3f5db3d7, v18
	ds_write_b64 v201, v[11:12] offset:256
	v_add_f32_e32 v12, v42, v46
	v_add_f32_e32 v11, v41, v45
	v_lshrrev_b32_e32 v19, 4, v20
	v_add_f32_e32 v9, v9, v39
	v_add_f32_e32 v10, v10, v40
	v_fmac_f32_e32 v13, 0x3f5db3d7, v17
	v_fmac_f32_e32 v14, 0xbf5db3d7, v18
	v_fma_f32 v11, -0.5, v11, v27
	v_fma_f32 v12, -0.5, v12, v28
	v_mul_u32_u24_e32 v19, 48, v19
	ds_write2_b64 v201, v[9:10], v[13:14] offset1:16
	v_add_f32_e32 v9, v27, v41
	v_add_f32_e32 v10, v28, v42
	v_sub_f32_e32 v17, v42, v46
	v_sub_f32_e32 v18, v41, v45
	v_mov_b32_e32 v13, v11
	v_mov_b32_e32 v14, v12
	v_or_b32_e32 v19, v19, v15
	v_add_f32_e32 v9, v9, v45
	v_add_f32_e32 v10, v10, v46
	v_fmac_f32_e32 v13, 0x3f5db3d7, v17
	v_fmac_f32_e32 v14, 0xbf5db3d7, v18
	v_lshlrev_b32_e32 v202, 3, v19
	v_fmac_f32_e32 v11, 0xbf5db3d7, v17
	v_fmac_f32_e32 v12, 0x3f5db3d7, v18
	ds_write2_b64 v202, v[9:10], v[13:14] offset1:16
	ds_write_b64 v202, v[11:12] offset:256
	v_add_f32_e32 v10, v43, v47
	v_add_f32_e32 v11, v44, v48
	;; [unrolled: 1-line block ×3, first 2 shown]
	v_fma_f32 v29, -0.5, v10, v29
	v_add_f32_e32 v10, v30, v44
	v_fmac_f32_e32 v30, -0.5, v11
	v_lshrrev_b32_e32 v11, 4, v16
	v_mul_u32_u24_e32 v11, 48, v11
	v_sub_f32_e32 v13, v44, v48
	v_sub_f32_e32 v14, v43, v47
	v_or_b32_e32 v17, v11, v36
	v_mov_b32_e32 v11, v29
	v_mov_b32_e32 v12, v30
	v_add_f32_e32 v9, v9, v47
	v_add_f32_e32 v10, v10, v48
	v_fmac_f32_e32 v11, 0x3f5db3d7, v13
	v_fmac_f32_e32 v12, 0xbf5db3d7, v14
	v_lshlrev_b32_e32 v203, 3, v17
	ds_write2_b64 v203, v[9:10], v[11:12] offset1:16
	v_fmac_f32_e32 v29, 0xbf5db3d7, v13
	v_add_f32_e32 v12, v50, v54
	v_add_f32_e32 v11, v49, v53
	v_lshrrev_b32_e32 v13, 4, v26
	v_fma_f32 v11, -0.5, v11, v31
	v_fma_f32 v12, -0.5, v12, v32
	v_mul_u32_u24_e32 v13, 48, v13
	v_fmac_f32_e32 v30, 0x3f5db3d7, v14
	v_add_f32_e32 v9, v31, v49
	v_add_f32_e32 v10, v32, v50
	v_sub_f32_e32 v17, v50, v54
	v_sub_f32_e32 v18, v49, v53
	v_or_b32_e32 v15, v13, v15
	v_mov_b32_e32 v13, v11
	v_mov_b32_e32 v14, v12
	v_add_f32_e32 v9, v9, v53
	v_add_f32_e32 v10, v10, v54
	v_fmac_f32_e32 v13, 0x3f5db3d7, v17
	v_fmac_f32_e32 v14, 0xbf5db3d7, v18
	v_lshlrev_b32_e32 v204, 3, v15
	ds_write_b64 v203, v[29:30] offset:256
	ds_write2_b64 v204, v[9:10], v[13:14] offset1:16
	v_add_f32_e32 v9, v51, v55
	v_fmac_f32_e32 v11, 0xbf5db3d7, v17
	v_fmac_f32_e32 v12, 0x3f5db3d7, v18
	v_add_f32_e32 v10, v33, v51
	v_fma_f32 v33, -0.5, v9, v33
	ds_write_b64 v204, v[11:12] offset:256
	v_sub_f32_e32 v11, v52, v56
	v_mov_b32_e32 v9, v33
	v_fmac_f32_e32 v9, 0x3f5db3d7, v11
	v_fmac_f32_e32 v33, 0xbf5db3d7, v11
	v_add_f32_e32 v11, v10, v55
	v_add_f32_e32 v10, v34, v52
	;; [unrolled: 1-line block ×4, first 2 shown]
	v_fmac_f32_e32 v34, -0.5, v10
	v_sub_f32_e32 v13, v51, v55
	v_mov_b32_e32 v10, v34
	v_fmac_f32_e32 v10, 0xbf5db3d7, v13
	v_fmac_f32_e32 v34, 0x3f5db3d7, v13
	v_lshrrev_b32_e32 v13, 4, v25
	v_mul_u32_u24_e32 v13, 48, v13
	v_or_b32_e32 v13, v13, v35
	v_lshlrev_b32_e32 v205, 3, v13
	ds_write2_b64 v205, v[11:12], v[9:10] offset1:16
	ds_write_b64 v205, v[33:34] offset:256
	v_add_co_u32_e32 v9, vcc, s0, v162
	v_addc_co_u32_e64 v10, s[0:1], 0, -1, vcc
	s_movk_i32 s0, 0xab
	v_mul_lo_u16_sdwa v17, v16, s0 dst_sel:DWORD dst_unused:UNUSED_PAD src0_sel:BYTE_0 src1_sel:DWORD
	v_lshrrev_b16_e32 v50, 13, v17
	v_mul_lo_u16_e32 v17, 48, v50
	v_mul_lo_u16_sdwa v11, v8, s0 dst_sel:DWORD dst_unused:UNUSED_PAD src0_sel:BYTE_0 src1_sel:DWORD
	v_sub_u16_e32 v16, v16, v17
	v_mul_lo_u16_sdwa v17, v20, s0 dst_sel:DWORD dst_unused:UNUSED_PAD src0_sel:BYTE_0 src1_sel:DWORD
	s_mov_b32 s0, 0xaaab
	v_mul_u32_u24_sdwa v33, v26, s0 dst_sel:DWORD dst_unused:UNUSED_PAD src0_sel:WORD_0 src1_sel:DWORD
	v_cmp_gt_u16_e32 vcc, 48, v162
	v_lshrrev_b32_e32 v54, 21, v33
	v_cndmask_b32_e64 v28, v10, 0, vcc
	v_cndmask_b32_e32 v27, v9, v162, vcc
	v_mul_lo_u16_e32 v33, 48, v54
	v_lshlrev_b64 v[9:10], 4, v[27:28]
	v_sub_u16_e32 v55, v26, v33
	v_mul_u32_u24_sdwa v26, v25, s0 dst_sel:DWORD dst_unused:UNUSED_PAD src0_sel:WORD_0 src1_sel:DWORD
	v_lshrrev_b32_e32 v56, 21, v26
	v_mov_b32_e32 v32, s15
	v_add_co_u32_e32 v9, vcc, s14, v9
	v_mul_lo_u16_e32 v26, 48, v56
	v_addc_co_u32_e32 v10, vcc, v32, v10, vcc
	v_sub_u16_e32 v57, v25, v26
	v_lshlrev_b16_e32 v25, 4, v55
	v_add_co_u32_e32 v25, vcc, s14, v25
	v_lshrrev_b16_e32 v48, 13, v11
	v_addc_co_u32_e32 v26, vcc, 0, v32, vcc
	s_waitcnt lgkmcnt(0)
	; wave barrier
	s_waitcnt lgkmcnt(0)
	global_load_dwordx4 v[12:15], v[9:10], off offset:368
	global_load_dwordx4 v[40:43], v[25:26], off offset:368
	v_mul_lo_u16_e32 v9, 48, v48
	v_sub_u16_e32 v8, v8, v9
	v_and_b32_e32 v49, 0xff, v8
	v_lshlrev_b32_e32 v8, 4, v49
	global_load_dwordx4 v[8:11], v8, s[14:15] offset:368
	v_lshrrev_b16_e32 v51, 13, v17
	v_mul_lo_u16_e32 v17, 48, v51
	v_sub_u16_e32 v17, v20, v17
	v_and_b32_e32 v52, 0xff, v17
	v_and_b32_e32 v53, 0xff, v16
	v_lshlrev_b32_e32 v16, 4, v52
	global_load_dwordx4 v[28:31], v16, s[14:15] offset:368
	v_lshlrev_b32_e32 v16, 4, v53
	global_load_dwordx4 v[16:19], v16, s[14:15] offset:368
	v_lshlrev_b16_e32 v33, 4, v57
	v_add_co_u32_e32 v25, vcc, s14, v33
	v_addc_co_u32_e32 v26, vcc, 0, v32, vcc
	global_load_dwordx4 v[36:39], v[25:26], off offset:368
	ds_read2_b64 v[32:35], v23 offset0:80 offset1:136
	ds_read2_b64 v[44:47], v21 offset0:160 offset1:216
	v_cmp_lt_u16_e32 vcc, 47, v162
	s_movk_i32 s0, 0x90
	s_waitcnt vmcnt(5) lgkmcnt(1)
	v_mul_f32_e32 v25, v33, v13
	v_fma_f32 v25, v32, v12, -v25
	v_mul_f32_e32 v26, v32, v13
	v_fmac_f32_e32 v26, v33, v12
	s_waitcnt lgkmcnt(0)
	v_mul_f32_e32 v61, v44, v15
	v_fmac_f32_e32 v61, v45, v14
	s_waitcnt vmcnt(3)
	v_mul_f32_e32 v32, v35, v9
	v_fma_f32 v58, v34, v8, -v32
	v_mul_f32_e32 v59, v34, v9
	v_mul_f32_e32 v32, v45, v15
	v_fmac_f32_e32 v59, v35, v8
	v_fma_f32 v60, v44, v14, -v32
	ds_read2_b64 v[32:35], v23 offset0:192 offset1:248
	v_mul_f32_e32 v44, v47, v11
	v_fma_f32 v62, v46, v10, -v44
	v_mul_f32_e32 v63, v46, v11
	v_fmac_f32_e32 v63, v47, v10
	s_waitcnt vmcnt(2) lgkmcnt(0)
	v_mul_f32_e32 v44, v33, v29
	v_fma_f32 v64, v32, v28, -v44
	ds_read2_b64 v[44:47], v22 offset0:16 offset1:72
	v_mul_f32_e32 v65, v32, v29
	s_waitcnt vmcnt(1)
	v_mul_f32_e32 v32, v35, v17
	v_fma_f32 v66, v34, v16, -v32
	v_mul_f32_e32 v67, v34, v17
	s_waitcnt lgkmcnt(0)
	v_mul_f32_e32 v32, v45, v31
	v_fmac_f32_e32 v65, v33, v28
	v_fmac_f32_e32 v67, v35, v16
	v_fma_f32 v68, v44, v30, -v32
	ds_read2_b64 v[32:35], v21 offset0:48 offset1:104
	v_mul_f32_e32 v69, v44, v31
	v_mul_f32_e32 v44, v47, v19
	v_fma_f32 v70, v46, v18, -v44
	v_mul_f32_e32 v71, v46, v19
	s_waitcnt lgkmcnt(0)
	v_mul_f32_e32 v44, v33, v41
	v_fmac_f32_e32 v69, v45, v30
	v_fmac_f32_e32 v71, v47, v18
	v_fma_f32 v76, v32, v40, -v44
	ds_read2_b64 v[44:47], v22 offset0:128 offset1:184
	v_mul_f32_e32 v77, v32, v41
	s_waitcnt vmcnt(0)
	v_mul_f32_e32 v32, v35, v37
	v_fma_f32 v78, v34, v36, -v32
	v_mul_f32_e32 v79, v34, v37
	s_waitcnt lgkmcnt(0)
	v_mul_f32_e32 v32, v45, v43
	v_fma_f32 v80, v44, v42, -v32
	v_mul_f32_e32 v32, v47, v39
	v_fmac_f32_e32 v77, v33, v40
	v_fmac_f32_e32 v79, v35, v36
	v_fma_f32 v82, v46, v38, -v32
	ds_read2_b64 v[32:35], v159 offset1:56
	v_mul_f32_e32 v81, v44, v43
	v_mov_b32_e32 v44, 0x90
	v_cndmask_b32_e32 v44, 0, v44, vcc
	v_add_lshl_u32 v206, v27, v44, 3
	s_waitcnt lgkmcnt(0)
	v_add_f32_e32 v27, v32, v25
	v_add_f32_e32 v44, v27, v60
	;; [unrolled: 1-line block ×3, first 2 shown]
	v_fmac_f32_e32 v81, v45, v42
	v_add_f32_e32 v45, v27, v61
	v_sub_f32_e32 v84, v26, v61
	v_add_f32_e32 v26, v26, v61
	v_add_f32_e32 v27, v25, v60
	v_mul_f32_e32 v83, v46, v39
	v_fma_f32 v32, -0.5, v27, v32
	v_fma_f32 v33, -0.5, v26, v33
	v_fmac_f32_e32 v83, v47, v38
	v_sub_f32_e32 v60, v25, v60
	v_mov_b32_e32 v46, v32
	v_mov_b32_e32 v47, v33
	v_fmac_f32_e32 v46, 0x3f5db3d7, v84
	v_fmac_f32_e32 v47, 0xbf5db3d7, v60
	ds_read2_b64 v[72:75], v24 offset0:96 offset1:152
	ds_read2_b64 v[24:27], v159 offset0:112 offset1:168
	v_fmac_f32_e32 v32, 0xbf5db3d7, v84
	v_fmac_f32_e32 v33, 0x3f5db3d7, v60
	s_waitcnt lgkmcnt(0)
	; wave barrier
	s_waitcnt lgkmcnt(0)
	ds_write2_b64 v206, v[44:45], v[46:47] offset1:48
	ds_write_b64 v206, v[32:33] offset:768
	v_add_f32_e32 v33, v58, v62
	v_add_f32_e32 v44, v59, v63
	;; [unrolled: 1-line block ×3, first 2 shown]
	v_fma_f32 v34, -0.5, v33, v34
	v_add_f32_e32 v33, v35, v59
	v_sub_f32_e32 v46, v59, v63
	v_fmac_f32_e32 v35, -0.5, v44
	v_sub_f32_e32 v47, v58, v62
	v_mul_u32_u24_e32 v44, 0x90, v48
	v_add_lshl_u32 v207, v44, v49, 3
	v_mov_b32_e32 v44, v34
	v_mov_b32_e32 v45, v35
	v_fmac_f32_e32 v34, 0xbf5db3d7, v46
	v_fmac_f32_e32 v35, 0x3f5db3d7, v47
	v_add_f32_e32 v32, v32, v62
	v_add_f32_e32 v33, v33, v63
	v_fmac_f32_e32 v44, 0x3f5db3d7, v46
	v_fmac_f32_e32 v45, 0xbf5db3d7, v47
	ds_write_b64 v207, v[34:35] offset:768
	v_add_f32_e32 v34, v65, v69
	v_add_f32_e32 v35, v64, v68
	ds_write2_b64 v207, v[32:33], v[44:45] offset1:48
	v_add_f32_e32 v32, v24, v64
	v_add_f32_e32 v33, v25, v65
	v_fma_f32 v24, -0.5, v35, v24
	v_fma_f32 v25, -0.5, v34, v25
	v_mul_u32_u24_e32 v34, 0x90, v51
	v_sub_f32_e32 v44, v65, v69
	v_sub_f32_e32 v45, v64, v68
	v_add_lshl_u32 v208, v34, v52, 3
	v_mov_b32_e32 v34, v24
	v_mov_b32_e32 v35, v25
	v_add_f32_e32 v32, v32, v68
	v_add_f32_e32 v33, v33, v69
	v_fmac_f32_e32 v34, 0x3f5db3d7, v44
	v_fmac_f32_e32 v35, 0xbf5db3d7, v45
	;; [unrolled: 1-line block ×4, first 2 shown]
	ds_write2_b64 v208, v[32:33], v[34:35] offset1:48
	ds_write_b64 v208, v[24:25] offset:768
	v_add_f32_e32 v25, v66, v70
	v_add_f32_e32 v32, v67, v71
	;; [unrolled: 1-line block ×3, first 2 shown]
	v_fma_f32 v26, -0.5, v25, v26
	v_add_f32_e32 v25, v27, v67
	v_sub_f32_e32 v34, v67, v71
	v_fmac_f32_e32 v27, -0.5, v32
	v_sub_f32_e32 v35, v66, v70
	v_mul_u32_u24_e32 v32, 0x90, v50
	v_add_lshl_u32 v209, v32, v53, 3
	v_mov_b32_e32 v32, v26
	v_mov_b32_e32 v33, v27
	v_fmac_f32_e32 v26, 0xbf5db3d7, v34
	v_fmac_f32_e32 v27, 0x3f5db3d7, v35
	ds_write_b64 v209, v[26:27] offset:768
	v_add_f32_e32 v26, v77, v81
	v_add_f32_e32 v27, v76, v80
	;; [unrolled: 1-line block ×4, first 2 shown]
	v_fmac_f32_e32 v32, 0x3f5db3d7, v34
	v_fmac_f32_e32 v33, 0xbf5db3d7, v35
	v_fma_f32 v68, -0.5, v27, v72
	v_fma_f32 v69, -0.5, v26, v73
	ds_write2_b64 v209, v[24:25], v[32:33] offset1:48
	v_add_f32_e32 v24, v72, v76
	v_add_f32_e32 v25, v73, v77
	v_sub_f32_e32 v32, v77, v81
	v_sub_f32_e32 v33, v76, v80
	v_mad_legacy_u16 v34, v54, s0, v55
	v_mov_b32_e32 v26, v68
	v_mov_b32_e32 v27, v69
	v_add_f32_e32 v24, v24, v80
	v_add_f32_e32 v25, v25, v81
	v_fmac_f32_e32 v26, 0x3f5db3d7, v32
	v_fmac_f32_e32 v27, 0xbf5db3d7, v33
	v_lshlrev_b32_e32 v210, 3, v34
	ds_write2_b64 v210, v[24:25], v[26:27] offset1:48
	v_add_f32_e32 v24, v74, v78
	v_add_f32_e32 v70, v24, v82
	;; [unrolled: 1-line block ×3, first 2 shown]
	v_fma_f32 v74, -0.5, v24, v74
	v_mov_b32_e32 v72, v74
	v_sub_f32_e32 v24, v79, v83
	v_fmac_f32_e32 v72, 0x3f5db3d7, v24
	v_fmac_f32_e32 v74, 0xbf5db3d7, v24
	v_add_f32_e32 v24, v75, v79
	v_add_f32_e32 v71, v24, v83
	;; [unrolled: 1-line block ×3, first 2 shown]
	v_fmac_f32_e32 v75, -0.5, v24
	v_sub_f32_e32 v24, v78, v82
	v_mov_b32_e32 v73, v75
	v_fmac_f32_e32 v73, 0xbf5db3d7, v24
	v_fmac_f32_e32 v75, 0x3f5db3d7, v24
	v_mad_legacy_u16 v24, v56, s0, v57
	v_fmac_f32_e32 v68, 0xbf5db3d7, v32
	v_fmac_f32_e32 v69, 0x3f5db3d7, v33
	v_lshlrev_b32_e32 v211, 3, v24
	ds_write_b64 v210, v[68:69] offset:768
	ds_write2_b64 v211, v[70:71], v[72:73] offset1:48
	ds_write_b64 v211, v[74:75] offset:768
	s_waitcnt lgkmcnt(0)
	; wave barrier
	s_waitcnt lgkmcnt(0)
	v_add_u32_e32 v24, 0x1400, v159
	ds_read2_b64 v[92:95], v23 offset0:32 offset1:88
	ds_read2_b64 v[88:91], v23 offset0:176 offset1:232
	;; [unrolled: 1-line block ×4, first 2 shown]
	ds_read2_b64 v[76:79], v159 offset1:56
	ds_read2_b64 v[100:103], v159 offset0:144 offset1:200
	ds_read2_b64 v[96:99], v24 offset0:80 offset1:136
	v_cmp_gt_u16_e32 vcc, 32, v162
	s_and_saveexec_b64 s[0:1], vcc
	s_cbranch_execz .LBB0_3
; %bb.2:
	v_add_u32_e32 v21, 0x200, v159
	ds_read2_b64 v[68:71], v21 offset0:48 offset1:192
	v_add_u32_e32 v21, 0xc00, v159
	ds_read2_b64 v[72:75], v21 offset0:16 offset1:160
	ds_read2_b64 v[104:107], v24 offset0:48 offset1:192
	ds_read_b64 v[157:158], v159 offset:7808
.LBB0_3:
	s_or_b64 exec, exec, s[0:1]
	v_mad_u64_u32 v[21:22], s[0:1], v162, 48, s[14:15]
	v_subrev_u32_e32 v23, 32, v162
	v_cndmask_b32_e32 v20, v23, v20, vcc
	global_load_dwordx4 v[52:55], v[21:22], off offset:1136
	global_load_dwordx4 v[48:51], v[21:22], off offset:1152
	;; [unrolled: 1-line block ×6, first 2 shown]
	v_mul_hi_i32_i24_e32 v21, 48, v20
	v_mul_i32_i24_e32 v20, 48, v20
	v_mov_b32_e32 v25, s15
	v_add_co_u32_e64 v24, s[0:1], s14, v20
	v_addc_co_u32_e64 v25, s[0:1], v25, v21, s[0:1]
	global_load_dwordx4 v[20:23], v[24:25], off offset:1136
	global_load_dwordx4 v[32:35], v[24:25], off offset:1152
	s_nop 0
	global_load_dwordx4 v[24:27], v[24:25], off offset:1168
	v_lshlrev_b32_e32 v214, 3, v212
	v_lshlrev_b32_e32 v212, 3, v213
	s_mov_b32 s0, 0x3f5ff5aa
	s_mov_b32 s1, 0x3f3bfb3b
	;; [unrolled: 1-line block ×4, first 2 shown]
	s_waitcnt vmcnt(8) lgkmcnt(1)
	v_mul_f32_e32 v213, v101, v53
	v_mul_f32_e32 v216, v93, v55
	s_waitcnt vmcnt(7)
	v_mul_f32_e32 v221, v84, v51
	s_waitcnt vmcnt(6) lgkmcnt(0)
	v_mul_f32_e32 v222, v97, v45
	v_mul_f32_e32 v224, v81, v47
	;; [unrolled: 1-line block ×9, first 2 shown]
	v_fma_f32 v100, v100, v52, -v213
	v_fma_f32 v92, v92, v54, -v216
	v_fmac_f32_e32 v221, v85, v50
	v_fma_f32 v85, v96, v44, -v222
	v_fma_f32 v80, v80, v46, -v224
	s_waitcnt vmcnt(5)
	v_mul_f32_e32 v226, v103, v57
	v_mul_f32_e32 v227, v102, v57
	;; [unrolled: 1-line block ×4, first 2 shown]
	s_waitcnt vmcnt(3)
	v_mul_f32_e32 v230, v91, v65
	v_fmac_f32_e32 v215, v101, v52
	v_fmac_f32_e32 v217, v93, v54
	v_fma_f32 v88, v88, v48, -v218
	v_fmac_f32_e32 v219, v89, v48
	v_fma_f32 v84, v84, v50, -v220
	v_fmac_f32_e32 v223, v97, v44
	v_fmac_f32_e32 v225, v81, v46
	v_add_f32_e32 v89, v100, v80
	v_add_f32_e32 v93, v92, v85
	v_mul_f32_e32 v231, v90, v65
	v_mul_f32_e32 v233, v86, v67
	;; [unrolled: 1-line block ×4, first 2 shown]
	s_waitcnt vmcnt(2)
	v_mul_f32_e32 v239, v70, v21
	v_mul_f32_e32 v240, v73, v23
	s_waitcnt vmcnt(1)
	v_mul_f32_e32 v242, v75, v33
	v_mul_f32_e32 v243, v74, v33
	v_fma_f32 v81, v102, v56, -v226
	v_fmac_f32_e32 v227, v103, v56
	v_fma_f32 v102, v94, v58, -v228
	v_fmac_f32_e32 v229, v95, v58
	v_fma_f32 v103, v90, v64, -v230
	v_add_f32_e32 v90, v215, v225
	v_add_f32_e32 v94, v217, v223
	;; [unrolled: 1-line block ×4, first 2 shown]
	v_mul_f32_e32 v232, v87, v67
	v_mul_f32_e32 v238, v71, v21
	;; [unrolled: 1-line block ×4, first 2 shown]
	v_fmac_f32_e32 v231, v91, v64
	v_fmac_f32_e32 v233, v87, v66
	v_fma_f32 v87, v98, v60, -v234
	v_fmac_f32_e32 v235, v99, v60
	v_fmac_f32_e32 v239, v71, v20
	v_fma_f32 v71, v72, v22, -v240
	v_fma_f32 v72, v74, v32, -v242
	v_fmac_f32_e32 v243, v75, v32
	s_waitcnt vmcnt(0)
	v_mul_f32_e32 v74, v107, v25
	v_mul_f32_e32 v75, v106, v25
	v_sub_f32_e32 v91, v215, v225
	v_sub_f32_e32 v85, v92, v85
	;; [unrolled: 1-line block ×3, first 2 shown]
	v_add_f32_e32 v96, v219, v221
	v_sub_f32_e32 v84, v84, v88
	v_sub_f32_e32 v88, v221, v219
	v_add_f32_e32 v98, v94, v90
	v_sub_f32_e32 v99, v93, v89
	v_sub_f32_e32 v101, v89, v95
	;; [unrolled: 1-line block ×3, first 2 shown]
	v_add_f32_e32 v95, v95, v97
	v_mul_f32_e32 v245, v104, v35
	v_fmac_f32_e32 v241, v73, v22
	v_fma_f32 v73, v104, v34, -v244
	v_fma_f32 v74, v106, v24, -v74
	v_fmac_f32_e32 v75, v107, v24
	v_sub_f32_e32 v80, v100, v80
	v_sub_f32_e32 v100, v94, v90
	;; [unrolled: 1-line block ×4, first 2 shown]
	v_add_f32_e32 v89, v84, v85
	v_add_f32_e32 v104, v88, v92
	v_sub_f32_e32 v106, v88, v92
	v_sub_f32_e32 v107, v91, v88
	v_add_f32_e32 v96, v96, v98
	v_add_f32_e32 v88, v76, v95
	v_fmac_f32_e32 v245, v105, v34
	v_sub_f32_e32 v105, v84, v85
	v_sub_f32_e32 v84, v80, v84
	;; [unrolled: 1-line block ×4, first 2 shown]
	v_add_f32_e32 v80, v89, v80
	v_add_f32_e32 v91, v104, v91
	;; [unrolled: 1-line block ×3, first 2 shown]
	v_mul_f32_e32 v104, 0xbf08b237, v106
	v_mov_b32_e32 v106, v88
	v_mul_f32_e32 v76, 0x3f4a47b2, v101
	v_mul_f32_e32 v77, 0x3f4a47b2, v90
	;; [unrolled: 1-line block ×4, first 2 shown]
	v_fmac_f32_e32 v106, 0xbf955555, v95
	v_mov_b32_e32 v95, v89
	v_mul_f32_e32 v236, v83, v63
	v_mul_f32_e32 v101, 0xbf08b237, v105
	;; [unrolled: 1-line block ×3, first 2 shown]
	v_fmac_f32_e32 v95, 0xbf955555, v96
	v_fma_f32 v90, v99, s1, -v90
	v_fma_f32 v96, v100, s1, -v97
	;; [unrolled: 1-line block ×3, first 2 shown]
	v_fmac_f32_e32 v76, 0x3d64c772, v93
	v_fma_f32 v99, v92, s0, -v104
	v_fmac_f32_e32 v104, 0x3eae86e6, v107
	v_mul_f32_e32 v237, v82, v63
	v_fma_f32 v82, v82, v62, -v236
	v_mul_f32_e32 v105, 0x3f5ff5aa, v92
	v_fma_f32 v93, v100, s4, -v77
	v_fmac_f32_e32 v77, 0x3d64c772, v94
	v_fma_f32 v85, v85, s0, -v101
	v_fmac_f32_e32 v101, 0x3eae86e6, v84
	v_fma_f32 v84, v84, s5, -v98
	v_add_f32_e32 v76, v76, v106
	v_add_f32_e32 v100, v90, v106
	v_fmac_f32_e32 v104, 0x3ee1c552, v91
	v_fmac_f32_e32 v99, 0x3ee1c552, v91
	v_fma_f32 v86, v86, v66, -v232
	v_fmac_f32_e32 v237, v83, v62
	v_fma_f32 v98, v107, s5, -v105
	v_add_f32_e32 v77, v77, v95
	v_add_f32_e32 v105, v96, v95
	;; [unrolled: 1-line block ×3, first 2 shown]
	v_fmac_f32_e32 v101, 0x3ee1c552, v80
	v_fmac_f32_e32 v85, 0x3ee1c552, v80
	v_fmac_f32_e32 v84, 0x3ee1c552, v80
	v_add_f32_e32 v90, v104, v76
	v_sub_f32_e32 v94, v100, v99
	v_add_f32_e32 v96, v99, v100
	v_sub_f32_e32 v100, v76, v104
	;; [unrolled: 2-line block ×3, first 2 shown]
	v_add_f32_e32 v82, v102, v87
	v_add_f32_e32 v106, v97, v106
	v_fmac_f32_e32 v98, 0x3ee1c552, v91
	v_sub_f32_e32 v91, v77, v101
	v_sub_f32_e32 v93, v107, v84
	v_add_f32_e32 v95, v85, v105
	v_sub_f32_e32 v97, v105, v85
	v_add_f32_e32 v99, v84, v107
	v_add_f32_e32 v101, v101, v77
	;; [unrolled: 1-line block ×4, first 2 shown]
	v_sub_f32_e32 v85, v102, v87
	v_add_f32_e32 v102, v103, v86
	v_add_f32_e32 v105, v82, v76
	v_mul_f32_e32 v83, v158, v27
	v_add_f32_e32 v92, v98, v106
	v_sub_f32_e32 v98, v106, v98
	v_sub_f32_e32 v87, v229, v235
	v_add_f32_e32 v104, v231, v233
	v_sub_f32_e32 v86, v86, v103
	v_sub_f32_e32 v103, v233, v231
	v_add_f32_e32 v106, v84, v77
	v_add_f32_e32 v105, v102, v105
	v_fma_f32 v83, v157, v26, -v83
	v_mul_f32_e32 v213, v157, v27
	v_sub_f32_e32 v81, v227, v237
	v_sub_f32_e32 v107, v82, v76
	;; [unrolled: 1-line block ×7, first 2 shown]
	v_add_f32_e32 v215, v103, v87
	v_add_f32_e32 v104, v104, v106
	;; [unrolled: 1-line block ×3, first 2 shown]
	v_sub_f32_e32 v216, v86, v85
	v_sub_f32_e32 v217, v103, v87
	;; [unrolled: 1-line block ×4, first 2 shown]
	v_add_f32_e32 v81, v215, v81
	v_add_f32_e32 v103, v79, v104
	v_mov_b32_e32 v215, v102
	v_fmac_f32_e32 v213, v158, v26
	v_add_f32_e32 v158, v86, v85
	v_sub_f32_e32 v86, v80, v86
	v_sub_f32_e32 v85, v85, v80
	v_mul_f32_e32 v76, 0x3f4a47b2, v76
	v_mul_f32_e32 v77, 0x3f4a47b2, v77
	v_mul_f32_e32 v79, 0x3d64c772, v84
	v_mul_f32_e32 v220, 0xbf08b237, v216
	v_mul_f32_e32 v219, 0xbf08b237, v217
	v_fmac_f32_e32 v215, 0xbf955555, v105
	v_mov_b32_e32 v105, v103
	v_add_f32_e32 v80, v158, v80
	v_mul_f32_e32 v78, 0x3d64c772, v82
	v_mul_f32_e32 v106, 0x3f5ff5aa, v85
	v_fmac_f32_e32 v105, 0xbf955555, v104
	v_fma_f32 v79, v157, s1, -v79
	v_fma_f32 v104, v107, s4, -v76
	v_fmac_f32_e32 v76, 0x3d64c772, v82
	v_fma_f32 v82, v157, s4, -v77
	v_fmac_f32_e32 v77, 0x3d64c772, v84
	v_fma_f32 v84, v85, s0, -v220
	v_fmac_f32_e32 v220, 0x3eae86e6, v86
	v_fma_f32 v85, v87, s0, -v219
	v_fmac_f32_e32 v219, 0x3eae86e6, v218
	v_fma_f32 v70, v70, v20, -v238
	v_mul_f32_e32 v158, 0x3f5ff5aa, v87
	v_fma_f32 v86, v86, s5, -v106
	v_add_f32_e32 v76, v76, v215
	v_add_f32_e32 v77, v77, v105
	;; [unrolled: 1-line block ×3, first 2 shown]
	v_fmac_f32_e32 v220, 0x3ee1c552, v80
	v_fmac_f32_e32 v219, 0x3ee1c552, v81
	v_fmac_f32_e32 v84, 0x3ee1c552, v80
	v_fma_f32 v78, v107, s1, -v78
	v_fma_f32 v87, v218, s5, -v158
	v_add_f32_e32 v217, v104, v215
	v_add_f32_e32 v82, v82, v105
	v_fmac_f32_e32 v86, 0x3ee1c552, v80
	v_add_f32_e32 v104, v219, v76
	v_sub_f32_e32 v105, v77, v220
	v_add_f32_e32 v158, v84, v79
	v_sub_f32_e32 v216, v79, v84
	v_sub_f32_e32 v219, v76, v219
	v_add_f32_e32 v220, v220, v77
	v_add_f32_e32 v76, v70, v83
	;; [unrolled: 1-line block ×6, first 2 shown]
	v_fmac_f32_e32 v85, 0x3ee1c552, v81
	v_fmac_f32_e32 v87, 0x3ee1c552, v81
	v_sub_f32_e32 v107, v82, v86
	v_add_f32_e32 v218, v86, v82
	v_sub_f32_e32 v70, v70, v83
	v_sub_f32_e32 v71, v71, v74
	v_sub_f32_e32 v74, v241, v75
	v_add_f32_e32 v75, v72, v73
	v_add_f32_e32 v81, v243, v245
	;; [unrolled: 1-line block ×4, first 2 shown]
	v_sub_f32_e32 v157, v78, v85
	v_add_f32_e32 v215, v85, v78
	v_sub_f32_e32 v78, v239, v213
	v_sub_f32_e32 v72, v73, v72
	;; [unrolled: 1-line block ×6, first 2 shown]
	v_add_f32_e32 v82, v75, v82
	v_add_f32_e32 v81, v81, v83
	;; [unrolled: 1-line block ×3, first 2 shown]
	v_sub_f32_e32 v217, v217, v87
	v_sub_f32_e32 v84, v79, v76
	;; [unrolled: 1-line block ×4, first 2 shown]
	v_add_f32_e32 v86, v72, v71
	v_add_f32_e32 v87, v73, v74
	v_sub_f32_e32 v213, v72, v71
	v_sub_f32_e32 v221, v73, v74
	;; [unrolled: 1-line block ×6, first 2 shown]
	v_add_f32_e32 v72, v68, v82
	v_add_f32_e32 v73, v69, v81
	;; [unrolled: 1-line block ×4, first 2 shown]
	v_mul_f32_e32 v68, 0x3f4a47b2, v76
	v_mul_f32_e32 v69, 0x3f4a47b2, v77
	;; [unrolled: 1-line block ×8, first 2 shown]
	v_mov_b32_e32 v87, v72
	v_mov_b32_e32 v213, v73
	v_fmac_f32_e32 v87, 0xbf955555, v82
	v_fmac_f32_e32 v213, 0xbf955555, v81
	v_fma_f32 v76, v84, s1, -v76
	v_fma_f32 v77, v85, s1, -v77
	v_fma_f32 v221, v84, s4, -v68
	v_fmac_f32_e32 v68, 0x3d64c772, v79
	v_fma_f32 v226, v85, s4, -v69
	v_fmac_f32_e32 v69, 0x3d64c772, v80
	v_fma_f32 v78, v71, s0, -v74
	;; [unrolled: 2-line block ×4, first 2 shown]
	v_fma_f32 v82, v223, s5, -v86
	v_add_f32_e32 v80, v68, v87
	v_add_f32_e32 v83, v69, v213
	;; [unrolled: 1-line block ×6, first 2 shown]
	v_fmac_f32_e32 v74, 0x3ee1c552, v70
	v_fmac_f32_e32 v75, 0x3ee1c552, v225
	;; [unrolled: 1-line block ×6, first 2 shown]
	v_add_f32_e32 v68, v79, v84
	v_sub_f32_e32 v69, v86, v78
	v_sub_f32_e32 v70, v85, v82
	v_add_f32_e32 v71, v81, v87
	v_sub_f32_e32 v76, v80, v75
	v_add_f32_e32 v77, v74, v83
	ds_write_b64 v159, v[90:91] offset:1152
	ds_write_b64 v159, v[92:93] offset:2304
	;; [unrolled: 1-line block ×6, first 2 shown]
	ds_write2_b64 v159, v[88:89], v[102:103] offset1:56
	ds_write_b64 v159, v[104:105] offset:1600
	ds_write_b64 v159, v[106:107] offset:2752
	;; [unrolled: 1-line block ×6, first 2 shown]
	s_and_saveexec_b64 s[0:1], vcc
	s_cbranch_execz .LBB0_5
; %bb.4:
	v_sub_f32_e32 v88, v84, v79
	v_sub_f32_e32 v79, v87, v81
	;; [unrolled: 1-line block ×3, first 2 shown]
	v_add_f32_e32 v80, v75, v80
	v_add_u32_e32 v74, 0x200, v159
	v_add_f32_e32 v89, v78, v86
	v_add_f32_e32 v78, v82, v85
	ds_write2_b64 v74, v[72:73], v[80:81] offset0:48 offset1:192
	v_add_u32_e32 v72, 0xc00, v159
	ds_write2_b64 v72, v[78:79], v[88:89] offset0:16 offset1:160
	v_add_u32_e32 v72, 0x1400, v159
	ds_write2_b64 v72, v[68:69], v[70:71] offset0:48 offset1:192
	ds_write_b64 v159, v[76:77] offset:7808
.LBB0_5:
	s_or_b64 exec, exec, s[0:1]
	s_add_u32 s4, s12, 0x1f80
	s_addc_u32 s5, s13, 0
	v_lshlrev_b32_e32 v75, 3, v162
	s_waitcnt lgkmcnt(0)
	; wave barrier
	s_waitcnt lgkmcnt(0)
	global_load_dwordx2 v[73:74], v75, s[4:5]
	global_load_dwordx2 v[86:87], v75, s[4:5] offset:448
	global_load_dwordx2 v[157:158], v75, s[4:5] offset:4032
	v_mov_b32_e32 v72, s5
	v_add_co_u32_e64 v78, s[0:1], s4, v75
	s_movk_i32 s6, 0x1000
	v_addc_co_u32_e64 v72, s[0:1], 0, v72, s[0:1]
	v_add_co_u32_e64 v88, s[0:1], s6, v78
	v_addc_co_u32_e64 v89, s[0:1], 0, v72, s[0:1]
	global_load_dwordx2 v[215:216], v[88:89], off offset:384
	global_load_dwordx2 v[217:218], v75, s[4:5] offset:896
	global_load_dwordx2 v[219:220], v[88:89], off offset:832
	global_load_dwordx2 v[221:222], v75, s[4:5] offset:1344
	;; [unrolled: 2-line block ×6, first 2 shown]
	global_load_dwordx2 v[239:240], v168, s[4:5]
	ds_read2_b64 v[82:85], v159 offset1:56
	global_load_dwordx2 v[241:242], v75, s[4:5] offset:3584
	global_load_dwordx2 v[243:244], v[88:89], off offset:3520
	v_add_u32_e32 v79, 0x800, v159
	v_add_u32_e32 v80, 0x1000, v159
	;; [unrolled: 1-line block ×5, first 2 shown]
	s_waitcnt vmcnt(17) lgkmcnt(0)
	v_mul_f32_e32 v88, v83, v74
	v_mul_f32_e32 v75, v82, v74
	v_fma_f32 v74, v82, v73, -v88
	v_fmac_f32_e32 v75, v83, v73
	s_waitcnt vmcnt(16)
	v_mul_f32_e32 v89, v85, v87
	v_mul_f32_e32 v246, v84, v87
	ds_write_b64 v159, v[74:75]
	v_fma_f32 v245, v84, v86, -v89
	v_fmac_f32_e32 v246, v85, v86
	ds_read2_b64 v[83:86], v79 offset0:192 offset1:248
	ds_read2_b64 v[87:90], v80 offset0:48 offset1:104
	;; [unrolled: 1-line block ×6, first 2 shown]
	s_waitcnt vmcnt(15) lgkmcnt(5)
	v_mul_f32_e32 v73, v86, v158
	v_mul_f32_e32 v74, v85, v158
	s_waitcnt vmcnt(14) lgkmcnt(4)
	v_mul_f32_e32 v75, v88, v216
	v_mul_f32_e32 v158, v87, v216
	;; [unrolled: 3-line block ×3, first 2 shown]
	s_waitcnt vmcnt(12)
	v_mul_f32_e32 v107, v90, v220
	v_mul_f32_e32 v218, v89, v220
	s_waitcnt vmcnt(11)
	v_mul_f32_e32 v168, v94, v222
	v_mul_f32_e32 v220, v93, v222
	s_waitcnt vmcnt(10) lgkmcnt(2)
	v_mul_f32_e32 v213, v96, v224
	v_mul_f32_e32 v222, v95, v224
	s_waitcnt vmcnt(9) lgkmcnt(1)
	v_mul_f32_e32 v247, v100, v226
	v_mul_f32_e32 v224, v99, v226
	v_fma_f32 v73, v85, v157, -v73
	v_fmac_f32_e32 v74, v86, v157
	v_fma_f32 v157, v87, v215, -v75
	v_fmac_f32_e32 v158, v88, v215
	;; [unrolled: 2-line block ×7, first 2 shown]
	ds_write2_b64 v78, v[73:74], v[157:158] offset0:120 offset1:176
	ds_write2_b64 v159, v[245:246], v[215:216] offset0:56 offset1:112
	;; [unrolled: 1-line block ×4, first 2 shown]
	ds_read2_b64 v[85:88], v79 offset0:80 offset1:136
	ds_read2_b64 v[89:92], v81 offset0:128 offset1:184
	s_waitcnt vmcnt(8)
	v_mul_f32_e32 v248, v98, v228
	v_mul_f32_e32 v226, v97, v228
	s_waitcnt vmcnt(6) lgkmcnt(6)
	v_mul_f32_e32 v73, v104, v232
	v_mul_f32_e32 v74, v103, v232
	v_fma_f32 v225, v97, v227, -v248
	v_fmac_f32_e32 v226, v98, v227
	v_fma_f32 v73, v103, v231, -v73
	v_fmac_f32_e32 v74, v104, v231
	v_add_u32_e32 v82, 0x1400, v159
	v_mul_f32_e32 v249, v102, v230
	v_mul_f32_e32 v228, v101, v230
	ds_write2_b64 v82, v[225:226], v[73:74] offset0:88 offset1:144
	s_waitcnt vmcnt(5) lgkmcnt(2)
	v_mul_f32_e32 v73, v86, v234
	v_mul_f32_e32 v74, v85, v234
	v_fma_f32 v227, v101, v229, -v249
	v_fmac_f32_e32 v228, v102, v229
	v_fma_f32 v73, v85, v233, -v73
	v_fmac_f32_e32 v74, v86, v233
	s_waitcnt vmcnt(3)
	v_mul_f32_e32 v75, v88, v238
	v_mul_f32_e32 v86, v87, v238
	ds_write2_b64 v79, v[227:228], v[73:74] offset0:24 offset1:80
	v_mul_f32_e32 v73, v106, v236
	v_mul_f32_e32 v74, v105, v236
	v_fma_f32 v85, v87, v237, -v75
	v_fmac_f32_e32 v86, v88, v237
	s_waitcnt vmcnt(2) lgkmcnt(2)
	v_mul_f32_e32 v75, v90, v240
	v_mul_f32_e32 v88, v89, v240
	v_fma_f32 v73, v105, v235, -v73
	v_fmac_f32_e32 v74, v106, v235
	v_fma_f32 v87, v89, v239, -v75
	v_fmac_f32_e32 v88, v90, v239
	ds_write2_b64 v81, v[73:74], v[87:88] offset0:72 offset1:128
	s_waitcnt vmcnt(1)
	v_mul_f32_e32 v73, v84, v242
	v_mul_f32_e32 v74, v83, v242
	v_fma_f32 v73, v83, v241, -v73
	v_fmac_f32_e32 v74, v84, v241
	ds_write2_b64 v79, v[85:86], v[73:74] offset0:136 offset1:192
	s_waitcnt vmcnt(0)
	v_mul_f32_e32 v73, v92, v244
	v_mul_f32_e32 v74, v91, v244
	v_fma_f32 v73, v91, v243, -v73
	v_fmac_f32_e32 v74, v92, v243
	ds_write_b64 v159, v[73:74] offset:7616
	s_waitcnt lgkmcnt(0)
	; wave barrier
	s_waitcnt lgkmcnt(0)
	ds_read2_b64 v[83:86], v159 offset1:56
	ds_read2_b64 v[87:90], v79 offset0:192 offset1:248
	ds_read2_b64 v[91:94], v80 offset0:48 offset1:104
	;; [unrolled: 1-line block ×8, first 2 shown]
	s_waitcnt lgkmcnt(6)
	v_sub_f32_e32 v91, v85, v91
	v_sub_f32_e32 v92, v86, v92
	;; [unrolled: 1-line block ×4, first 2 shown]
	v_fma_f32 v89, v85, 2.0, -v91
	v_fma_f32 v90, v86, 2.0, -v92
	s_waitcnt lgkmcnt(5)
	v_sub_f32_e32 v85, v95, v93
	v_sub_f32_e32 v86, v96, v94
	v_fma_f32 v227, v83, 2.0, -v229
	v_fma_f32 v228, v84, 2.0, -v230
	;; [unrolled: 1-line block ×4, first 2 shown]
	s_waitcnt lgkmcnt(4)
	v_sub_f32_e32 v95, v97, v99
	v_sub_f32_e32 v96, v98, v100
	s_waitcnt lgkmcnt(3)
	v_sub_f32_e32 v99, v103, v101
	v_sub_f32_e32 v100, v104, v102
	v_fma_f32 v93, v97, 2.0, -v95
	v_fma_f32 v94, v98, 2.0, -v96
	v_fma_f32 v97, v103, 2.0, -v99
	v_fma_f32 v98, v104, 2.0, -v100
	s_waitcnt lgkmcnt(2)
	v_sub_f32_e32 v103, v105, v215
	v_sub_f32_e32 v104, v106, v216
	s_waitcnt lgkmcnt(1)
	v_sub_f32_e32 v217, v219, v217
	v_fma_f32 v101, v105, 2.0, -v103
	v_fma_f32 v102, v106, 2.0, -v104
	v_sub_f32_e32 v218, v220, v218
	v_fma_f32 v215, v219, 2.0, -v217
	s_waitcnt lgkmcnt(0)
	v_sub_f32_e32 v223, v221, v223
	v_sub_f32_e32 v224, v222, v224
	;; [unrolled: 1-line block ×4, first 2 shown]
	v_fma_f32 v216, v220, 2.0, -v218
	v_fma_f32 v221, v221, 2.0, -v223
	;; [unrolled: 1-line block ×5, first 2 shown]
	s_waitcnt lgkmcnt(0)
	; wave barrier
	ds_write_b128 v163, v[227:230]
	ds_write_b128 v164, v[89:92]
	;; [unrolled: 1-line block ×9, first 2 shown]
	s_waitcnt lgkmcnt(0)
	; wave barrier
	s_waitcnt lgkmcnt(0)
	ds_read2_b64 v[83:86], v159 offset1:56
	ds_read2_b64 v[87:90], v79 offset0:192 offset1:248
	ds_read2_b64 v[91:94], v80 offset0:48 offset1:104
	ds_read2_b64 v[95:98], v159 offset0:112 offset1:168
	ds_read2_b64 v[99:102], v80 offset0:160 offset1:216
	ds_read2_b64 v[103:106], v72 offset0:96 offset1:152
	ds_read2_b64 v[163:166], v81 offset0:16 offset1:72
	ds_read2_b64 v[167:170], v79 offset0:80 offset1:136
	ds_read2_b64 v[212:215], v81 offset0:128 offset1:184
	s_waitcnt lgkmcnt(7)
	v_mul_f32_e32 v73, v146, v90
	v_fmac_f32_e32 v73, v145, v89
	v_mul_f32_e32 v74, v146, v89
	s_waitcnt lgkmcnt(6)
	v_mul_f32_e32 v89, v146, v91
	v_fma_f32 v74, v145, v90, -v74
	v_fma_f32 v90, v145, v92, -v89
	v_mul_f32_e32 v89, v146, v93
	v_mul_f32_e32 v75, v146, v92
	v_fma_f32 v92, v145, v94, -v89
	s_waitcnt lgkmcnt(4)
	v_mul_f32_e32 v107, v146, v100
	v_mul_f32_e32 v89, v146, v99
	v_fmac_f32_e32 v107, v145, v99
	v_fma_f32 v99, v145, v100, -v89
	v_mul_f32_e32 v100, v146, v102
	v_mul_f32_e32 v89, v146, v101
	v_fmac_f32_e32 v100, v145, v101
	v_fma_f32 v101, v145, v102, -v89
	s_waitcnt lgkmcnt(2)
	v_mul_f32_e32 v157, v146, v164
	v_mul_f32_e32 v89, v146, v163
	v_fmac_f32_e32 v157, v145, v163
	v_fma_f32 v158, v145, v164, -v89
	v_mul_f32_e32 v163, v146, v166
	v_mul_f32_e32 v89, v146, v165
	v_fmac_f32_e32 v75, v145, v91
	v_mul_f32_e32 v91, v146, v94
	v_fmac_f32_e32 v163, v145, v165
	v_fma_f32 v164, v145, v166, -v89
	s_waitcnt lgkmcnt(0)
	v_mul_f32_e32 v165, v146, v213
	v_mul_f32_e32 v89, v146, v212
	v_fmac_f32_e32 v91, v145, v93
	v_fmac_f32_e32 v165, v145, v212
	v_fma_f32 v166, v145, v213, -v89
	v_mul_f32_e32 v212, v146, v215
	v_mul_f32_e32 v89, v146, v214
	v_sub_f32_e32 v92, v96, v92
	v_fmac_f32_e32 v212, v145, v214
	v_fma_f32 v213, v145, v215, -v89
	v_sub_f32_e32 v91, v95, v91
	v_fma_f32 v94, v96, 2.0, -v92
	v_sub_f32_e32 v96, v98, v99
	v_sub_f32_e32 v99, v103, v100
	;; [unrolled: 1-line block ×9, first 2 shown]
	v_fma_f32 v93, v95, 2.0, -v91
	v_sub_f32_e32 v95, v97, v107
	v_fma_f32 v101, v103, 2.0, -v99
	v_fma_f32 v102, v104, 2.0, -v100
	v_sub_f32_e32 v103, v105, v157
	v_sub_f32_e32 v104, v106, v158
	v_fma_f32 v157, v167, 2.0, -v145
	v_fma_f32 v158, v168, 2.0, -v146
	v_sub_f32_e32 v163, v169, v165
	v_sub_f32_e32 v164, v170, v166
	v_sub_f32_e32 v167, v87, v212
	v_sub_f32_e32 v168, v88, v213
	v_fma_f32 v83, v83, 2.0, -v73
	v_fma_f32 v84, v84, 2.0, -v74
	;; [unrolled: 1-line block ×12, first 2 shown]
	s_waitcnt lgkmcnt(0)
	; wave barrier
	ds_write2_b64 v171, v[83:84], v[73:74] offset1:2
	ds_write2_b64 v172, v[85:86], v[89:90] offset1:2
	;; [unrolled: 1-line block ×9, first 2 shown]
	s_waitcnt lgkmcnt(0)
	; wave barrier
	s_waitcnt lgkmcnt(0)
	ds_read2_b64 v[83:86], v159 offset1:56
	ds_read2_b64 v[87:90], v79 offset0:192 offset1:248
	ds_read2_b64 v[91:94], v80 offset0:48 offset1:104
	;; [unrolled: 1-line block ×8, first 2 shown]
	s_waitcnt lgkmcnt(7)
	v_mul_f32_e32 v73, v148, v90
	v_fmac_f32_e32 v73, v147, v89
	v_mul_f32_e32 v74, v148, v89
	s_waitcnt lgkmcnt(6)
	v_mul_f32_e32 v89, v148, v91
	v_fma_f32 v74, v147, v90, -v74
	v_fma_f32 v90, v147, v92, -v89
	v_mul_f32_e32 v89, v148, v93
	v_mul_f32_e32 v75, v148, v92
	v_fma_f32 v92, v147, v94, -v89
	s_waitcnt lgkmcnt(4)
	v_mul_f32_e32 v107, v148, v100
	v_mul_f32_e32 v89, v148, v99
	v_fmac_f32_e32 v107, v147, v99
	v_fma_f32 v99, v147, v100, -v89
	v_mul_f32_e32 v100, v148, v102
	v_mul_f32_e32 v89, v148, v101
	v_fmac_f32_e32 v100, v147, v101
	v_fma_f32 v101, v147, v102, -v89
	s_waitcnt lgkmcnt(2)
	v_mul_f32_e32 v89, v148, v163
	v_fma_f32 v146, v147, v164, -v89
	v_mul_f32_e32 v89, v148, v165
	v_fmac_f32_e32 v75, v147, v91
	v_mul_f32_e32 v91, v148, v94
	v_mul_f32_e32 v145, v148, v164
	;; [unrolled: 1-line block ×3, first 2 shown]
	v_fma_f32 v158, v147, v166, -v89
	s_waitcnt lgkmcnt(0)
	v_mul_f32_e32 v89, v148, v171
	v_fmac_f32_e32 v91, v147, v93
	v_fmac_f32_e32 v145, v147, v163
	;; [unrolled: 1-line block ×3, first 2 shown]
	v_mul_f32_e32 v163, v148, v172
	v_fma_f32 v164, v147, v172, -v89
	v_mul_f32_e32 v165, v148, v174
	v_mul_f32_e32 v89, v148, v173
	v_sub_f32_e32 v92, v96, v92
	v_fmac_f32_e32 v163, v147, v171
	v_fmac_f32_e32 v165, v147, v173
	v_fma_f32 v166, v147, v174, -v89
	v_sub_f32_e32 v91, v95, v91
	v_fma_f32 v94, v96, 2.0, -v92
	v_sub_f32_e32 v96, v98, v99
	v_sub_f32_e32 v99, v103, v100
	;; [unrolled: 1-line block ×7, first 2 shown]
	v_fma_f32 v93, v95, 2.0, -v91
	v_sub_f32_e32 v95, v97, v107
	v_fma_f32 v101, v103, 2.0, -v99
	v_fma_f32 v102, v104, 2.0, -v100
	v_sub_f32_e32 v103, v105, v145
	v_sub_f32_e32 v104, v106, v146
	;; [unrolled: 1-line block ×8, first 2 shown]
	v_fma_f32 v83, v83, 2.0, -v73
	v_fma_f32 v84, v84, 2.0, -v74
	;; [unrolled: 1-line block ×14, first 2 shown]
	s_waitcnt lgkmcnt(0)
	; wave barrier
	ds_write2_b64 v180, v[83:84], v[73:74] offset1:4
	ds_write2_b64 v181, v[85:86], v[89:90] offset1:4
	;; [unrolled: 1-line block ×9, first 2 shown]
	s_waitcnt lgkmcnt(0)
	; wave barrier
	s_waitcnt lgkmcnt(0)
	ds_read2_b64 v[83:86], v159 offset1:56
	ds_read2_b64 v[87:90], v79 offset0:192 offset1:248
	ds_read2_b64 v[91:94], v80 offset0:48 offset1:104
	ds_read2_b64 v[95:98], v159 offset0:112 offset1:168
	ds_read2_b64 v[99:102], v80 offset0:160 offset1:216
	ds_read2_b64 v[103:106], v72 offset0:96 offset1:152
	ds_read2_b64 v[145:148], v81 offset0:16 offset1:72
	ds_read2_b64 v[163:166], v79 offset0:80 offset1:136
	ds_read2_b64 v[167:170], v81 offset0:128 offset1:184
	s_waitcnt lgkmcnt(7)
	v_mul_f32_e32 v73, v150, v90
	v_fmac_f32_e32 v73, v149, v89
	v_mul_f32_e32 v74, v150, v89
	s_waitcnt lgkmcnt(6)
	v_mul_f32_e32 v89, v150, v91
	v_fma_f32 v74, v149, v90, -v74
	v_fma_f32 v90, v149, v92, -v89
	v_mul_f32_e32 v89, v150, v93
	v_mul_f32_e32 v75, v150, v92
	v_fma_f32 v92, v149, v94, -v89
	s_waitcnt lgkmcnt(4)
	v_mul_f32_e32 v107, v150, v100
	v_mul_f32_e32 v89, v150, v99
	v_fmac_f32_e32 v107, v149, v99
	v_fma_f32 v99, v149, v100, -v89
	v_mul_f32_e32 v100, v150, v102
	v_mul_f32_e32 v89, v150, v101
	v_fmac_f32_e32 v100, v149, v101
	v_fma_f32 v101, v149, v102, -v89
	s_waitcnt lgkmcnt(2)
	v_mul_f32_e32 v157, v150, v146
	v_mul_f32_e32 v89, v150, v145
	v_fmac_f32_e32 v157, v149, v145
	v_fma_f32 v145, v149, v146, -v89
	v_mul_f32_e32 v146, v150, v148
	v_mul_f32_e32 v89, v150, v147
	v_fmac_f32_e32 v75, v149, v91
	v_mul_f32_e32 v91, v150, v94
	v_fmac_f32_e32 v146, v149, v147
	v_fma_f32 v147, v149, v148, -v89
	s_waitcnt lgkmcnt(0)
	v_mul_f32_e32 v158, v150, v168
	v_mul_f32_e32 v89, v150, v167
	v_sub_f32_e32 v92, v96, v92
	v_fmac_f32_e32 v91, v149, v93
	v_fmac_f32_e32 v158, v149, v167
	v_fma_f32 v167, v149, v168, -v89
	v_mul_f32_e32 v168, v150, v170
	v_mul_f32_e32 v89, v150, v169
	v_fma_f32 v94, v96, 2.0, -v92
	v_sub_f32_e32 v96, v98, v99
	v_sub_f32_e32 v99, v103, v100
	;; [unrolled: 1-line block ×3, first 2 shown]
	v_fmac_f32_e32 v168, v149, v169
	v_fma_f32 v169, v149, v170, -v89
	v_sub_f32_e32 v91, v95, v91
	v_fma_f32 v102, v104, 2.0, -v100
	v_sub_f32_e32 v104, v106, v145
	v_sub_f32_e32 v145, v163, v146
	;; [unrolled: 1-line block ×7, first 2 shown]
	v_fma_f32 v93, v95, 2.0, -v91
	v_sub_f32_e32 v95, v97, v107
	v_fma_f32 v101, v103, 2.0, -v99
	v_sub_f32_e32 v103, v105, v157
	v_fma_f32 v147, v163, 2.0, -v145
	v_fma_f32 v148, v164, 2.0, -v146
	v_sub_f32_e32 v163, v87, v168
	v_sub_f32_e32 v164, v88, v169
	v_fma_f32 v83, v83, 2.0, -v73
	v_fma_f32 v84, v84, 2.0, -v74
	;; [unrolled: 1-line block ×8, first 2 shown]
	v_sub_f32_e32 v149, v165, v158
	v_sub_f32_e32 v150, v166, v167
	v_fma_f32 v87, v87, 2.0, -v163
	v_fma_f32 v88, v88, 2.0, -v164
	;; [unrolled: 1-line block ×4, first 2 shown]
	s_waitcnt lgkmcnt(0)
	; wave barrier
	ds_write2_b64 v189, v[83:84], v[73:74] offset1:8
	ds_write2_b64 v190, v[85:86], v[89:90] offset1:8
	ds_write2_b64 v191, v[93:94], v[91:92] offset1:8
	ds_write2_b64 v193, v[97:98], v[95:96] offset1:8
	ds_write2_b64 v194, v[101:102], v[99:100] offset1:8
	ds_write2_b64 v195, v[105:106], v[103:104] offset1:8
	ds_write2_b64 v196, v[147:148], v[145:146] offset1:8
	ds_write2_b64 v197, v[157:158], v[149:150] offset1:8
	ds_write2_b64 v198, v[87:88], v[163:164] offset1:8
	s_waitcnt lgkmcnt(0)
	; wave barrier
	s_waitcnt lgkmcnt(0)
	ds_read2_b64 v[83:86], v159 offset1:56
	ds_read2_b64 v[87:90], v79 offset0:80 offset1:136
	ds_read2_b64 v[91:94], v80 offset0:160 offset1:216
	;; [unrolled: 1-line block ×8, first 2 shown]
	s_waitcnt lgkmcnt(7)
	v_mul_f32_e32 v74, v1, v87
	v_mul_f32_e32 v73, v1, v88
	v_fma_f32 v74, v0, v88, -v74
	v_mul_f32_e32 v88, v152, v90
	v_fmac_f32_e32 v88, v199, v89
	v_mul_f32_e32 v89, v152, v89
	v_fmac_f32_e32 v73, v0, v87
	s_waitcnt lgkmcnt(6)
	v_mul_f32_e32 v75, v3, v92
	v_mul_f32_e32 v87, v3, v91
	v_fma_f32 v89, v199, v90, -v89
	v_mul_f32_e32 v90, v154, v94
	v_fmac_f32_e32 v75, v2, v91
	v_fma_f32 v87, v2, v92, -v87
	v_fmac_f32_e32 v90, v156, v93
	v_mul_f32_e32 v91, v154, v93
	s_waitcnt lgkmcnt(4)
	v_mul_f32_e32 v92, v1, v100
	v_mul_f32_e32 v93, v1, v99
	v_fmac_f32_e32 v92, v0, v99
	v_fma_f32 v93, v0, v100, -v93
	s_waitcnt lgkmcnt(3)
	v_mul_f32_e32 v99, v3, v103
	v_mul_f32_e32 v100, v5, v102
	;; [unrolled: 1-line block ×3, first 2 shown]
	v_fma_f32 v91, v156, v94, -v91
	v_mul_f32_e32 v94, v3, v104
	v_fma_f32 v99, v2, v104, -v99
	v_fmac_f32_e32 v100, v4, v101
	v_fma_f32 v101, v4, v102, -v5
	v_mul_f32_e32 v102, v7, v106
	v_mul_f32_e32 v4, v7, v105
	s_waitcnt lgkmcnt(1)
	v_mul_f32_e32 v104, v1, v164
	v_mul_f32_e32 v1, v1, v163
	v_fmac_f32_e32 v94, v2, v103
	v_fmac_f32_e32 v102, v6, v105
	v_fma_f32 v103, v6, v106, -v4
	v_fmac_f32_e32 v104, v0, v163
	v_fma_f32 v105, v0, v164, -v1
	s_waitcnt lgkmcnt(0)
	v_mul_f32_e32 v106, v3, v168
	v_mul_f32_e32 v0, v3, v167
	v_add_f32_e32 v3, v74, v87
	v_add_f32_e32 v1, v73, v75
	v_fma_f32 v3, -0.5, v3, v84
	v_fmac_f32_e32 v106, v2, v167
	v_fma_f32 v107, v2, v168, -v0
	v_mul_f32_e32 v0, v155, v165
	v_fma_f32 v2, -0.5, v1, v83
	v_sub_f32_e32 v6, v73, v75
	v_mov_b32_e32 v5, v3
	v_add_f32_e32 v7, v88, v90
	v_fma_f32 v150, v151, v166, -v0
	v_mul_f32_e32 v0, v192, v169
	v_sub_f32_e32 v1, v74, v87
	v_mov_b32_e32 v4, v2
	v_fmac_f32_e32 v5, 0x3f5db3d7, v6
	v_fmac_f32_e32 v3, 0xbf5db3d7, v6
	v_add_f32_e32 v6, v85, v88
	v_fma_f32 v85, -0.5, v7, v85
	v_fma_f32 v152, v153, v170, -v0
	v_add_f32_e32 v0, v83, v73
	v_fmac_f32_e32 v4, 0xbf5db3d7, v1
	v_fmac_f32_e32 v2, 0x3f5db3d7, v1
	v_add_f32_e32 v1, v84, v74
	v_sub_f32_e32 v7, v89, v91
	v_mov_b32_e32 v73, v85
	v_add_f32_e32 v74, v89, v91
	v_fmac_f32_e32 v73, 0xbf5db3d7, v7
	v_fmac_f32_e32 v85, 0x3f5db3d7, v7
	v_add_f32_e32 v7, v86, v89
	v_fmac_f32_e32 v86, -0.5, v74
	v_add_f32_e32 v0, v0, v75
	v_sub_f32_e32 v75, v88, v90
	v_mov_b32_e32 v74, v86
	v_fmac_f32_e32 v74, 0x3f5db3d7, v75
	v_fmac_f32_e32 v86, 0xbf5db3d7, v75
	v_add_f32_e32 v75, v95, v92
	v_add_f32_e32 v83, v75, v94
	;; [unrolled: 1-line block ×4, first 2 shown]
	v_fma_f32 v87, -0.5, v75, v95
	v_sub_f32_e32 v75, v93, v99
	v_mov_b32_e32 v89, v87
	v_fmac_f32_e32 v89, 0xbf5db3d7, v75
	v_fmac_f32_e32 v87, 0x3f5db3d7, v75
	v_add_f32_e32 v75, v96, v93
	v_add_f32_e32 v84, v75, v99
	;; [unrolled: 1-line block ×3, first 2 shown]
	v_fma_f32 v88, -0.5, v75, v96
	v_add_f32_e32 v6, v6, v90
	v_sub_f32_e32 v75, v92, v94
	v_mov_b32_e32 v90, v88
	v_fmac_f32_e32 v90, 0x3f5db3d7, v75
	v_fmac_f32_e32 v88, 0xbf5db3d7, v75
	v_add_f32_e32 v75, v97, v100
	v_add_f32_e32 v7, v7, v91
	;; [unrolled: 1-line block ×4, first 2 shown]
	v_fma_f32 v97, -0.5, v75, v97
	v_sub_f32_e32 v75, v101, v103
	v_mov_b32_e32 v93, v97
	v_fmac_f32_e32 v93, 0xbf5db3d7, v75
	v_fmac_f32_e32 v97, 0x3f5db3d7, v75
	v_add_f32_e32 v75, v98, v101
	v_add_f32_e32 v92, v75, v103
	v_add_f32_e32 v75, v101, v103
	v_fmac_f32_e32 v98, -0.5, v75
	v_sub_f32_e32 v75, v100, v102
	v_mov_b32_e32 v94, v98
	v_fmac_f32_e32 v94, 0x3f5db3d7, v75
	v_fmac_f32_e32 v98, 0xbf5db3d7, v75
	v_add_f32_e32 v75, v145, v104
	v_add_f32_e32 v95, v75, v106
	;; [unrolled: 1-line block ×3, first 2 shown]
	v_fma_f32 v99, -0.5, v75, v145
	v_sub_f32_e32 v75, v105, v107
	v_mov_b32_e32 v101, v99
	v_fmac_f32_e32 v101, 0xbf5db3d7, v75
	v_fmac_f32_e32 v99, 0x3f5db3d7, v75
	v_add_f32_e32 v75, v146, v105
	v_add_f32_e32 v96, v75, v107
	v_add_f32_e32 v75, v105, v107
	v_mul_f32_e32 v149, v155, v166
	v_fma_f32 v100, -0.5, v75, v146
	v_fmac_f32_e32 v149, v151, v165
	v_mul_f32_e32 v151, v192, v170
	v_sub_f32_e32 v75, v104, v106
	v_mov_b32_e32 v102, v100
	v_fmac_f32_e32 v151, v153, v169
	v_fmac_f32_e32 v102, 0x3f5db3d7, v75
	;; [unrolled: 1-line block ×3, first 2 shown]
	v_add_f32_e32 v75, v147, v149
	v_add_f32_e32 v103, v75, v151
	;; [unrolled: 1-line block ×3, first 2 shown]
	v_fma_f32 v147, -0.5, v75, v147
	v_sub_f32_e32 v75, v150, v152
	v_mov_b32_e32 v105, v147
	v_fmac_f32_e32 v105, 0xbf5db3d7, v75
	v_fmac_f32_e32 v147, 0x3f5db3d7, v75
	v_add_f32_e32 v75, v148, v150
	v_add_f32_e32 v104, v75, v152
	v_add_f32_e32 v75, v150, v152
	v_fmac_f32_e32 v148, -0.5, v75
	v_sub_f32_e32 v75, v149, v151
	v_mov_b32_e32 v106, v148
	v_fmac_f32_e32 v106, 0x3f5db3d7, v75
	v_fmac_f32_e32 v148, 0xbf5db3d7, v75
	s_waitcnt lgkmcnt(0)
	; wave barrier
	ds_write2_b64 v200, v[0:1], v[4:5] offset1:16
	ds_write_b64 v200, v[2:3] offset:256
	ds_write2_b64 v201, v[6:7], v[73:74] offset1:16
	ds_write_b64 v201, v[85:86] offset:256
	;; [unrolled: 2-line block ×6, first 2 shown]
	s_waitcnt lgkmcnt(0)
	; wave barrier
	s_waitcnt lgkmcnt(0)
	ds_read2_b64 v[83:86], v159 offset1:56
	ds_read2_b64 v[4:7], v79 offset0:80 offset1:136
	ds_read2_b64 v[87:90], v80 offset0:160 offset1:216
	;; [unrolled: 1-line block ×8, first 2 shown]
	s_waitcnt lgkmcnt(7)
	v_mul_f32_e32 v107, v13, v5
	v_fmac_f32_e32 v107, v12, v4
	v_mul_f32_e32 v4, v13, v4
	v_fma_f32 v4, v12, v5, -v4
	s_waitcnt lgkmcnt(6)
	v_mul_f32_e32 v5, v15, v88
	v_fmac_f32_e32 v5, v14, v87
	v_mul_f32_e32 v12, v15, v87
	v_mul_f32_e32 v87, v9, v7
	v_fmac_f32_e32 v87, v8, v6
	v_mul_f32_e32 v6, v9, v6
	v_fma_f32 v6, v8, v7, -v6
	v_mul_f32_e32 v7, v11, v90
	v_mul_f32_e32 v8, v11, v89
	v_add_f32_e32 v9, v107, v5
	v_fma_f32 v13, v14, v88, -v12
	v_fmac_f32_e32 v7, v10, v89
	v_fma_f32 v88, v10, v90, -v8
	v_fma_f32 v10, -0.5, v9, v83
	v_sub_f32_e32 v9, v4, v13
	v_mov_b32_e32 v12, v10
	v_fmac_f32_e32 v12, 0xbf5db3d7, v9
	v_fmac_f32_e32 v10, 0x3f5db3d7, v9
	v_add_f32_e32 v9, v84, v4
	v_add_f32_e32 v4, v4, v13
	v_fma_f32 v11, -0.5, v4, v84
	v_add_f32_e32 v9, v9, v13
	v_sub_f32_e32 v4, v107, v5
	v_mov_b32_e32 v13, v11
	s_waitcnt lgkmcnt(4)
	v_mul_f32_e32 v8, v29, v95
	v_fmac_f32_e32 v13, 0x3f5db3d7, v4
	v_fmac_f32_e32 v11, 0xbf5db3d7, v4
	v_add_f32_e32 v4, v85, v87
	v_mul_f32_e32 v89, v29, v96
	v_fma_f32 v29, v28, v96, -v8
	s_waitcnt lgkmcnt(3)
	v_mul_f32_e32 v8, v31, v99
	v_add_f32_e32 v14, v4, v7
	v_add_f32_e32 v4, v87, v7
	v_fmac_f32_e32 v89, v28, v95
	v_mul_f32_e32 v90, v31, v100
	v_fma_f32 v31, v30, v100, -v8
	v_mul_f32_e32 v95, v17, v98
	v_mul_f32_e32 v8, v17, v97
	v_fma_f32 v85, -0.5, v4, v85
	v_fmac_f32_e32 v95, v16, v97
	v_fma_f32 v96, v16, v98, -v8
	v_sub_f32_e32 v4, v6, v88
	v_mov_b32_e32 v16, v85
	v_fmac_f32_e32 v16, 0xbf5db3d7, v4
	v_fmac_f32_e32 v85, 0x3f5db3d7, v4
	v_add_f32_e32 v4, v86, v6
	v_add_f32_e32 v15, v4, v88
	;; [unrolled: 1-line block ×3, first 2 shown]
	v_fmac_f32_e32 v86, -0.5, v4
	v_sub_f32_e32 v4, v87, v7
	v_mov_b32_e32 v17, v86
	v_fmac_f32_e32 v90, v30, v99
	v_mul_f32_e32 v97, v19, v102
	v_mul_f32_e32 v8, v19, v101
	v_fmac_f32_e32 v17, 0x3f5db3d7, v4
	v_fmac_f32_e32 v86, 0xbf5db3d7, v4
	v_add_f32_e32 v4, v91, v89
	v_fmac_f32_e32 v97, v18, v101
	v_fma_f32 v98, v18, v102, -v8
	v_add_f32_e32 v18, v4, v90
	v_add_f32_e32 v4, v89, v90
	v_fma_f32 v28, -0.5, v4, v91
	v_sub_f32_e32 v4, v29, v31
	v_mov_b32_e32 v30, v28
	v_fmac_f32_e32 v30, 0xbf5db3d7, v4
	v_fmac_f32_e32 v28, 0x3f5db3d7, v4
	v_add_f32_e32 v4, v92, v29
	v_add_f32_e32 v19, v4, v31
	;; [unrolled: 1-line block ×3, first 2 shown]
	s_waitcnt lgkmcnt(1)
	v_mul_f32_e32 v99, v41, v73
	v_mul_f32_e32 v8, v41, v72
	v_fma_f32 v29, -0.5, v4, v92
	v_fmac_f32_e32 v99, v40, v72
	v_fma_f32 v72, v40, v73, -v8
	s_waitcnt lgkmcnt(0)
	v_mul_f32_e32 v8, v43, v103
	v_sub_f32_e32 v4, v89, v90
	v_mov_b32_e32 v31, v29
	v_mul_f32_e32 v73, v43, v104
	v_fma_f32 v43, v42, v104, -v8
	v_mul_f32_e32 v100, v37, v75
	v_mul_f32_e32 v8, v37, v74
	v_fmac_f32_e32 v31, 0x3f5db3d7, v4
	v_fmac_f32_e32 v29, 0xbf5db3d7, v4
	v_add_f32_e32 v4, v93, v95
	v_fmac_f32_e32 v100, v36, v74
	v_fma_f32 v74, v36, v75, -v8
	v_add_f32_e32 v36, v4, v97
	v_add_f32_e32 v4, v95, v97
	v_mul_f32_e32 v75, v39, v106
	v_mul_f32_e32 v8, v39, v105
	v_fma_f32 v93, -0.5, v4, v93
	v_fmac_f32_e32 v75, v38, v105
	v_fma_f32 v101, v38, v106, -v8
	v_sub_f32_e32 v4, v96, v98
	v_mov_b32_e32 v38, v93
	v_fmac_f32_e32 v38, 0xbf5db3d7, v4
	v_fmac_f32_e32 v93, 0x3f5db3d7, v4
	v_add_f32_e32 v4, v94, v96
	v_add_f32_e32 v37, v4, v98
	;; [unrolled: 1-line block ×3, first 2 shown]
	v_fmac_f32_e32 v94, -0.5, v4
	v_sub_f32_e32 v4, v95, v97
	v_mov_b32_e32 v39, v94
	v_fmac_f32_e32 v73, v42, v103
	v_fmac_f32_e32 v39, 0x3f5db3d7, v4
	;; [unrolled: 1-line block ×3, first 2 shown]
	v_add_f32_e32 v4, v0, v99
	v_add_f32_e32 v40, v4, v73
	;; [unrolled: 1-line block ×3, first 2 shown]
	v_fma_f32 v4, -0.5, v4, v0
	v_sub_f32_e32 v0, v72, v43
	v_mov_b32_e32 v42, v4
	v_fmac_f32_e32 v42, 0xbf5db3d7, v0
	v_fmac_f32_e32 v4, 0x3f5db3d7, v0
	v_add_f32_e32 v0, v1, v72
	v_add_f32_e32 v8, v83, v107
	v_add_f32_e32 v41, v0, v43
	v_add_f32_e32 v0, v72, v43
	v_add_f32_e32 v8, v8, v5
	v_fma_f32 v5, -0.5, v0, v1
	v_sub_f32_e32 v0, v99, v73
	v_mov_b32_e32 v43, v5
	v_fmac_f32_e32 v43, 0x3f5db3d7, v0
	v_fmac_f32_e32 v5, 0xbf5db3d7, v0
	v_add_f32_e32 v0, v2, v100
	v_add_f32_e32 v6, v0, v75
	;; [unrolled: 1-line block ×3, first 2 shown]
	v_fma_f32 v2, -0.5, v0, v2
	v_sub_f32_e32 v1, v74, v101
	v_mov_b32_e32 v0, v2
	v_fmac_f32_e32 v0, 0xbf5db3d7, v1
	v_fmac_f32_e32 v2, 0x3f5db3d7, v1
	v_add_f32_e32 v1, v3, v74
	v_add_f32_e32 v7, v1, v101
	;; [unrolled: 1-line block ×3, first 2 shown]
	v_fmac_f32_e32 v3, -0.5, v1
	v_sub_f32_e32 v72, v100, v75
	v_mov_b32_e32 v1, v3
	v_fmac_f32_e32 v1, 0x3f5db3d7, v72
	v_fmac_f32_e32 v3, 0xbf5db3d7, v72
	s_waitcnt lgkmcnt(0)
	; wave barrier
	ds_write2_b64 v206, v[8:9], v[12:13] offset1:48
	ds_write_b64 v206, v[10:11] offset:768
	ds_write2_b64 v207, v[14:15], v[16:17] offset1:48
	ds_write_b64 v207, v[85:86] offset:768
	;; [unrolled: 2-line block ×6, first 2 shown]
	s_waitcnt lgkmcnt(0)
	; wave barrier
	s_waitcnt lgkmcnt(0)
	ds_read2_b64 v[8:11], v159 offset1:56
	ds_read2_b64 v[72:75], v159 offset0:144 offset1:200
	ds_read2_b64 v[40:43], v79 offset0:32 offset1:88
	;; [unrolled: 1-line block ×6, first 2 shown]
	s_and_saveexec_b64 s[0:1], vcc
	s_cbranch_execz .LBB0_7
; %bb.6:
	v_add_u32_e32 v0, 0x200, v159
	ds_read2_b64 v[4:7], v0 offset0:48 offset1:192
	ds_read2_b64 v[0:3], v78 offset0:16 offset1:160
	ds_read2_b64 v[68:71], v82 offset0:48 offset1:192
	ds_read_b64 v[76:77], v159 offset:7808
.LBB0_7:
	s_or_b64 exec, exec, s[0:1]
	s_waitcnt lgkmcnt(5)
	v_mul_f32_e32 v78, v53, v73
	v_mul_f32_e32 v53, v53, v72
	v_fmac_f32_e32 v78, v52, v72
	v_fma_f32 v52, v52, v73, -v53
	s_waitcnt lgkmcnt(4)
	v_mul_f32_e32 v53, v55, v41
	v_fmac_f32_e32 v53, v54, v40
	v_mul_f32_e32 v40, v55, v40
	v_fma_f32 v40, v54, v41, -v40
	s_waitcnt lgkmcnt(3)
	v_mul_f32_e32 v41, v49, v37
	v_fmac_f32_e32 v41, v48, v36
	v_mul_f32_e32 v36, v49, v36
	;; [unrolled: 5-line block ×5, first 2 shown]
	v_fma_f32 v12, v46, v13, -v12
	v_mul_f32_e32 v13, v57, v74
	v_fma_f32 v45, v56, v75, -v13
	v_mul_f32_e32 v46, v59, v43
	v_mul_f32_e32 v13, v59, v42
	v_fmac_f32_e32 v46, v58, v42
	v_fma_f32 v42, v58, v43, -v13
	v_mul_f32_e32 v43, v65, v39
	v_mul_f32_e32 v13, v65, v38
	v_fmac_f32_e32 v43, v64, v38
	v_fma_f32 v38, v64, v39, -v13
	v_mul_f32_e32 v13, v67, v30
	v_fma_f32 v47, v66, v31, -v13
	v_mul_f32_e32 v13, v61, v18
	;; [unrolled: 2-line block ×3, first 2 shown]
	v_mul_f32_e32 v39, v67, v31
	v_mul_f32_e32 v48, v61, v19
	;; [unrolled: 1-line block ×3, first 2 shown]
	v_fma_f32 v51, v62, v15, -v13
	v_add_f32_e32 v13, v78, v17
	v_sub_f32_e32 v15, v78, v17
	v_add_f32_e32 v17, v53, v29
	v_fmac_f32_e32 v39, v66, v30
	v_fmac_f32_e32 v48, v60, v18
	;; [unrolled: 1-line block ×3, first 2 shown]
	v_add_f32_e32 v14, v52, v12
	v_add_f32_e32 v18, v40, v16
	v_sub_f32_e32 v19, v53, v29
	v_add_f32_e32 v29, v41, v37
	v_add_f32_e32 v30, v36, v28
	v_sub_f32_e32 v28, v28, v36
	v_add_f32_e32 v36, v17, v13
	v_sub_f32_e32 v16, v40, v16
	v_sub_f32_e32 v31, v37, v41
	v_add_f32_e32 v37, v18, v14
	v_sub_f32_e32 v40, v17, v13
	v_sub_f32_e32 v13, v13, v29
	;; [unrolled: 1-line block ×3, first 2 shown]
	v_add_f32_e32 v29, v29, v36
	v_mul_f32_e32 v44, v57, v75
	v_sub_f32_e32 v41, v18, v14
	v_sub_f32_e32 v14, v14, v30
	;; [unrolled: 1-line block ×3, first 2 shown]
	v_add_f32_e32 v30, v30, v37
	v_add_f32_e32 v8, v8, v29
	v_fmac_f32_e32 v44, v56, v74
	v_sub_f32_e32 v12, v52, v12
	v_add_f32_e32 v52, v31, v19
	v_add_f32_e32 v53, v28, v16
	v_sub_f32_e32 v54, v31, v19
	v_sub_f32_e32 v55, v28, v16
	v_add_f32_e32 v9, v9, v30
	v_mov_b32_e32 v56, v8
	v_sub_f32_e32 v31, v15, v31
	v_sub_f32_e32 v28, v12, v28
	;; [unrolled: 1-line block ×4, first 2 shown]
	v_add_f32_e32 v15, v52, v15
	v_add_f32_e32 v12, v53, v12
	v_mul_f32_e32 v13, 0x3f4a47b2, v13
	v_mul_f32_e32 v14, 0x3f4a47b2, v14
	;; [unrolled: 1-line block ×6, first 2 shown]
	s_mov_b32 s4, 0xbf5ff5aa
	v_fmac_f32_e32 v56, 0xbf955555, v29
	v_mov_b32_e32 v29, v9
	s_mov_b32 s5, 0x3f3bfb3b
	s_mov_b32 s6, 0xbf3bfb3b
	v_mul_f32_e32 v54, 0xbf5ff5aa, v19
	v_mul_f32_e32 v55, 0xbf5ff5aa, v16
	v_fmac_f32_e32 v29, 0xbf955555, v30
	v_fma_f32 v30, v40, s5, -v36
	v_fma_f32 v36, v41, s5, -v37
	v_fma_f32 v37, v40, s6, -v13
	v_fmac_f32_e32 v13, 0x3d64c772, v17
	v_fma_f32 v17, v41, s6, -v14
	v_fmac_f32_e32 v14, 0x3d64c772, v18
	v_fma_f32 v19, v19, s4, -v52
	v_fma_f32 v18, v16, s4, -v53
	v_fmac_f32_e32 v53, 0xbeae86e6, v28
	s_mov_b32 s7, 0x3eae86e6
	v_fmac_f32_e32 v52, 0xbeae86e6, v31
	v_fma_f32 v31, v31, s7, -v54
	v_fma_f32 v28, v28, s7, -v55
	v_add_f32_e32 v40, v13, v56
	v_add_f32_e32 v30, v30, v56
	;; [unrolled: 1-line block ×3, first 2 shown]
	v_fmac_f32_e32 v53, 0xbee1c552, v12
	v_fmac_f32_e32 v19, 0xbee1c552, v15
	;; [unrolled: 1-line block ×3, first 2 shown]
	v_add_f32_e32 v41, v14, v29
	v_add_f32_e32 v37, v37, v56
	;; [unrolled: 1-line block ×3, first 2 shown]
	v_fmac_f32_e32 v52, 0xbee1c552, v15
	v_fmac_f32_e32 v31, 0xbee1c552, v15
	;; [unrolled: 1-line block ×3, first 2 shown]
	v_add_f32_e32 v12, v53, v40
	v_sub_f32_e32 v16, v30, v18
	v_add_f32_e32 v17, v19, v36
	v_add_f32_e32 v18, v18, v30
	v_sub_f32_e32 v19, v36, v19
	v_sub_f32_e32 v30, v40, v53
	v_add_f32_e32 v36, v44, v50
	v_sub_f32_e32 v40, v44, v50
	v_add_f32_e32 v44, v46, v48
	;; [unrolled: 2-line block ×3, first 2 shown]
	v_sub_f32_e32 v15, v29, v31
	v_sub_f32_e32 v28, v37, v28
	v_add_f32_e32 v29, v31, v29
	v_add_f32_e32 v31, v52, v41
	;; [unrolled: 1-line block ×3, first 2 shown]
	v_sub_f32_e32 v41, v45, v51
	v_add_f32_e32 v45, v42, v49
	v_sub_f32_e32 v46, v46, v48
	v_add_f32_e32 v48, v43, v39
	;; [unrolled: 2-line block ×5, first 2 shown]
	v_add_f32_e32 v43, v48, v43
	v_add_f32_e32 v47, v49, v47
	;; [unrolled: 1-line block ×3, first 2 shown]
	v_sub_f32_e32 v50, v44, v36
	v_sub_f32_e32 v51, v45, v37
	;; [unrolled: 1-line block ×6, first 2 shown]
	v_add_f32_e32 v52, v39, v46
	v_add_f32_e32 v53, v38, v42
	v_sub_f32_e32 v54, v39, v46
	v_sub_f32_e32 v55, v38, v42
	;; [unrolled: 1-line block ×4, first 2 shown]
	v_add_f32_e32 v11, v11, v47
	v_mov_b32_e32 v56, v10
	v_sub_f32_e32 v39, v40, v39
	v_sub_f32_e32 v38, v41, v38
	v_add_f32_e32 v40, v52, v40
	v_add_f32_e32 v41, v53, v41
	v_mul_f32_e32 v36, 0x3f4a47b2, v36
	v_mul_f32_e32 v37, 0x3f4a47b2, v37
	;; [unrolled: 1-line block ×8, first 2 shown]
	v_fmac_f32_e32 v56, 0xbf955555, v43
	v_mov_b32_e32 v43, v11
	v_fmac_f32_e32 v43, 0xbf955555, v47
	v_fma_f32 v47, v50, s5, -v48
	v_fma_f32 v48, v51, s5, -v49
	;; [unrolled: 1-line block ×3, first 2 shown]
	v_fmac_f32_e32 v36, 0x3d64c772, v44
	v_fma_f32 v44, v51, s6, -v37
	v_fmac_f32_e32 v37, 0x3d64c772, v45
	v_fma_f32 v45, v46, s4, -v52
	;; [unrolled: 2-line block ×4, first 2 shown]
	v_fma_f32 v50, v38, s7, -v55
	v_add_f32_e32 v51, v36, v56
	v_add_f32_e32 v54, v37, v43
	;; [unrolled: 1-line block ×6, first 2 shown]
	v_fmac_f32_e32 v52, 0xbee1c552, v40
	v_fmac_f32_e32 v53, 0xbee1c552, v41
	;; [unrolled: 1-line block ×6, first 2 shown]
	v_add_f32_e32 v36, v53, v51
	v_sub_f32_e32 v37, v54, v52
	v_add_f32_e32 v38, v50, v49
	v_sub_f32_e32 v39, v55, v46
	v_sub_f32_e32 v40, v47, v42
	v_add_f32_e32 v41, v45, v48
	v_add_f32_e32 v42, v42, v47
	v_sub_f32_e32 v43, v48, v45
	v_sub_f32_e32 v44, v49, v50
	v_add_f32_e32 v45, v46, v55
	v_sub_f32_e32 v46, v51, v53
	v_add_f32_e32 v47, v52, v54
	ds_write_b64 v159, v[12:13] offset:1152
	ds_write_b64 v159, v[14:15] offset:2304
	;; [unrolled: 1-line block ×6, first 2 shown]
	ds_write2_b64 v159, v[8:9], v[10:11] offset1:56
	ds_write_b64 v159, v[36:37] offset:1600
	ds_write_b64 v159, v[38:39] offset:2752
	;; [unrolled: 1-line block ×6, first 2 shown]
	s_and_saveexec_b64 s[0:1], vcc
	s_cbranch_execz .LBB0_9
; %bb.8:
	v_mul_f32_e32 v12, v33, v3
	v_mul_f32_e32 v8, v21, v7
	v_fmac_f32_e32 v12, v32, v2
	v_mul_f32_e32 v2, v33, v2
	v_fmac_f32_e32 v8, v20, v6
	v_mul_f32_e32 v9, v27, v77
	v_mul_f32_e32 v27, v27, v76
	;; [unrolled: 1-line block ×3, first 2 shown]
	v_fma_f32 v2, v32, v3, -v2
	v_mul_f32_e32 v3, v35, v68
	v_fmac_f32_e32 v9, v26, v76
	v_mul_f32_e32 v15, v23, v1
	v_fma_f32 v26, v26, v77, -v27
	v_fma_f32 v6, v20, v7, -v6
	;; [unrolled: 1-line block ×3, first 2 shown]
	v_fmac_f32_e32 v15, v22, v0
	v_mul_f32_e32 v16, v25, v71
	v_add_f32_e32 v7, v26, v6
	v_add_f32_e32 v3, v2, v20
	v_mul_f32_e32 v25, v25, v70
	v_mul_f32_e32 v0, v23, v0
	v_fmac_f32_e32 v16, v24, v70
	v_sub_f32_e32 v21, v7, v3
	v_fma_f32 v24, v24, v71, -v25
	v_fma_f32 v22, v22, v1, -v0
	v_mul_f32_e32 v21, 0x3f4a47b2, v21
	v_add_f32_e32 v23, v24, v22
	v_sub_f32_e32 v0, v3, v23
	v_mov_b32_e32 v27, v21
	v_mul_f32_e32 v25, 0x3d64c772, v0
	v_fmac_f32_e32 v27, 0x3d64c772, v0
	v_add_f32_e32 v0, v23, v7
	v_add_f32_e32 v0, v3, v0
	v_mul_f32_e32 v11, v35, v69
	v_add_f32_e32 v1, v5, v0
	v_fmac_f32_e32 v11, v34, v68
	v_mov_b32_e32 v28, v1
	v_sub_f32_e32 v10, v8, v9
	v_fmac_f32_e32 v28, 0xbf955555, v0
	v_add_f32_e32 v8, v9, v8
	v_add_f32_e32 v0, v12, v11
	v_sub_f32_e32 v5, v8, v0
	v_sub_f32_e32 v13, v11, v12
	v_mul_f32_e32 v9, 0x3f4a47b2, v5
	v_add_f32_e32 v11, v16, v15
	v_sub_f32_e32 v17, v15, v16
	v_sub_f32_e32 v5, v0, v11
	v_mov_b32_e32 v15, v9
	v_mul_f32_e32 v12, 0x3d64c772, v5
	v_fmac_f32_e32 v15, 0x3d64c772, v5
	v_add_f32_e32 v5, v11, v8
	v_add_f32_e32 v5, v0, v5
	v_add_f32_e32 v0, v4, v5
	v_sub_f32_e32 v14, v10, v13
	v_sub_f32_e32 v18, v13, v17
	v_add_f32_e32 v13, v13, v17
	v_mov_b32_e32 v16, v0
	v_sub_f32_e32 v2, v20, v2
	v_sub_f32_e32 v20, v22, v24
	v_mul_f32_e32 v18, 0x3f08b237, v18
	v_add_f32_e32 v13, v13, v10
	v_fmac_f32_e32 v16, 0xbf955555, v5
	v_sub_f32_e32 v5, v2, v20
	v_sub_f32_e32 v10, v17, v10
	;; [unrolled: 1-line block ×3, first 2 shown]
	v_mov_b32_e32 v19, v18
	v_sub_f32_e32 v4, v6, v26
	v_mul_f32_e32 v22, 0x3f08b237, v5
	v_mul_f32_e32 v5, 0xbf5ff5aa, v10
	v_sub_f32_e32 v7, v23, v7
	v_fma_f32 v9, v8, s6, -v9
	v_fmac_f32_e32 v19, 0xbeae86e6, v14
	v_sub_f32_e32 v6, v4, v2
	v_add_f32_e32 v2, v2, v20
	v_fma_f32 v14, v14, s7, -v5
	v_fma_f32 v5, v7, s6, -v21
	v_add_f32_e32 v21, v9, v16
	v_sub_f32_e32 v9, v20, v4
	v_mov_b32_e32 v24, v22
	v_add_f32_e32 v26, v2, v4
	v_mul_f32_e32 v4, 0xbf5ff5aa, v9
	v_fmac_f32_e32 v24, 0xbeae86e6, v6
	v_fma_f32 v20, v6, s7, -v4
	v_fma_f32 v6, v7, s5, -v25
	;; [unrolled: 1-line block ×3, first 2 shown]
	v_fmac_f32_e32 v19, 0xbee1c552, v13
	v_fmac_f32_e32 v14, 0xbee1c552, v13
	v_add_f32_e32 v11, v6, v28
	v_fmac_f32_e32 v10, 0xbee1c552, v13
	v_fma_f32 v13, v9, s4, -v22
	v_fma_f32 v6, v8, s5, -v12
	v_add_f32_e32 v27, v27, v28
	v_add_f32_e32 v15, v15, v16
	v_fmac_f32_e32 v24, 0xbee1c552, v26
	v_add_f32_e32 v17, v5, v28
	v_fmac_f32_e32 v13, 0xbee1c552, v26
	v_add_f32_e32 v8, v6, v16
	v_add_f32_e32 v5, v14, v17
	v_fmac_f32_e32 v20, 0xbee1c552, v26
	v_sub_f32_e32 v7, v11, v10
	v_add_f32_e32 v6, v13, v8
	v_add_f32_e32 v9, v10, v11
	v_sub_f32_e32 v8, v8, v13
	v_sub_f32_e32 v11, v17, v14
	v_sub_f32_e32 v13, v27, v19
	v_add_f32_e32 v12, v24, v15
	v_add_u32_e32 v14, 0x200, v159
	v_add_f32_e32 v10, v20, v21
	ds_write2_b64 v14, v[0:1], v[12:13] offset0:48 offset1:192
	v_add_u32_e32 v0, 0xc00, v159
	v_sub_f32_e32 v4, v21, v20
	ds_write2_b64 v0, v[10:11], v[8:9] offset0:16 offset1:160
	v_add_u32_e32 v0, 0x1400, v159
	v_add_f32_e32 v3, v19, v27
	v_sub_f32_e32 v2, v15, v24
	ds_write2_b64 v0, v[6:7], v[4:5] offset0:48 offset1:192
	ds_write_b64 v159, v[2:3] offset:7808
.LBB0_9:
	s_or_b64 exec, exec, s[0:1]
	s_waitcnt lgkmcnt(0)
	; wave barrier
	s_waitcnt lgkmcnt(0)
	ds_read2_b64 v[0:3], v159 offset1:56
	v_mad_u64_u32 v[8:9], s[0:1], s10, v114, 0
	s_mov_b32 s0, 0x10410410
	s_mov_b32 s1, 0x3f504104
	s_waitcnt lgkmcnt(0)
	v_mul_f32_e32 v5, v128, v1
	v_fmac_f32_e32 v5, v127, v0
	v_cvt_f64_f32_e32 v[5:6], v5
	v_mul_f32_e32 v0, v128, v0
	v_fma_f32 v0, v127, v1, -v0
	v_cvt_f64_f32_e32 v[0:1], v0
	v_mul_f64 v[5:6], v[5:6], s[0:1]
	v_mov_b32_e32 v4, v9
	v_add_u32_e32 v16, 0x800, v159
	v_mul_f64 v[0:1], v[0:1], s[0:1]
	v_mov_b32_e32 v14, s3
	v_add_u32_e32 v19, 0x1000, v159
	s_mul_i32 s3, s9, 0xfffff200
	v_mad_u64_u32 v[9:10], s[4:5], s11, v114, v[4:5]
	v_mad_u64_u32 v[10:11], s[4:5], s8, v162, 0
	v_cvt_f32_f64_e32 v12, v[5:6]
	v_cvt_f32_f64_e32 v13, v[0:1]
	v_mov_b32_e32 v0, v11
	ds_read2_b64 v[4:7], v16 offset0:192 offset1:248
	v_mad_u64_u32 v[0:1], s[4:5], s9, v162, v[0:1]
	s_mul_hi_u32 s4, s8, 0xfc0
	s_mul_hi_u32 s5, s8, 0xfffff200
	v_mov_b32_e32 v11, v0
	v_lshlrev_b64 v[0:1], 3, v[8:9]
	s_waitcnt lgkmcnt(0)
	v_mul_f32_e32 v8, v122, v7
	v_fmac_f32_e32 v8, v121, v6
	v_mul_f32_e32 v6, v122, v6
	v_fma_f32 v6, v121, v7, -v6
	v_cvt_f64_f32_e32 v[8:9], v8
	v_cvt_f64_f32_e32 v[6:7], v6
	v_add_co_u32_e32 v17, vcc, s2, v0
	v_addc_co_u32_e32 v18, vcc, v14, v1, vcc
	v_mul_f64 v[0:1], v[8:9], s[0:1]
	v_mul_f64 v[6:7], v[6:7], s[0:1]
	v_lshlrev_b64 v[8:9], 3, v[10:11]
	s_mul_i32 s2, s9, 0xfc0
	v_add_co_u32_e32 v8, vcc, v17, v8
	v_addc_co_u32_e32 v9, vcc, v18, v9, vcc
	v_cvt_f32_f64_e32 v0, v[0:1]
	v_cvt_f32_f64_e32 v1, v[6:7]
	v_mul_f32_e32 v6, v120, v3
	v_fmac_f32_e32 v6, v119, v2
	v_mul_f32_e32 v2, v120, v2
	v_fma_f32 v2, v119, v3, -v2
	v_cvt_f64_f32_e32 v[2:3], v2
	v_cvt_f64_f32_e32 v[6:7], v6
	s_add_i32 s4, s4, s2
	s_mul_i32 s2, s8, 0xfc0
	v_mul_f64 v[2:3], v[2:3], s[0:1]
	v_mul_f64 v[6:7], v[6:7], s[0:1]
	v_mov_b32_e32 v11, s4
	v_add_co_u32_e32 v10, vcc, s2, v8
	v_addc_co_u32_e32 v11, vcc, v9, v11, vcc
	global_store_dwordx2 v[8:9], v[12:13], off
	global_store_dwordx2 v[10:11], v[0:1], off
	v_cvt_f32_f64_e32 v13, v[2:3]
	ds_read2_b64 v[0:3], v19 offset0:48 offset1:104
	v_cvt_f32_f64_e32 v12, v[6:7]
	s_sub_i32 s5, s5, s8
	s_add_i32 s3, s5, s3
	s_mul_i32 s5, s8, 0xfffff200
	s_waitcnt lgkmcnt(0)
	v_mul_f32_e32 v6, v142, v1
	v_fmac_f32_e32 v6, v141, v0
	v_cvt_f64_f32_e32 v[6:7], v6
	v_mul_f32_e32 v0, v142, v0
	v_fma_f32 v0, v141, v1, -v0
	v_cvt_f64_f32_e32 v[0:1], v0
	v_mul_f64 v[14:15], v[6:7], s[0:1]
	ds_read2_b64 v[6:9], v159 offset0:112 offset1:168
	v_mov_b32_e32 v20, s3
	v_mul_f64 v[0:1], v[0:1], s[0:1]
	v_add_co_u32_e32 v10, vcc, s5, v10
	v_addc_co_u32_e32 v11, vcc, v11, v20, vcc
	global_store_dwordx2 v[10:11], v[12:13], off
	s_waitcnt lgkmcnt(0)
	v_mul_f32_e32 v12, v116, v7
	v_fmac_f32_e32 v12, v115, v6
	v_cvt_f64_f32_e32 v[12:13], v12
	v_mul_f32_e32 v6, v116, v6
	v_fma_f32 v6, v115, v7, -v6
	v_cvt_f32_f64_e32 v14, v[14:15]
	v_cvt_f32_f64_e32 v15, v[0:1]
	v_mul_f64 v[0:1], v[12:13], s[0:1]
	v_cvt_f64_f32_e32 v[6:7], v6
	v_mov_b32_e32 v20, s4
	v_add_co_u32_e32 v10, vcc, s2, v10
	v_mul_f64 v[6:7], v[6:7], s[0:1]
	v_addc_co_u32_e32 v11, vcc, v11, v20, vcc
	v_cvt_f32_f64_e32 v0, v[0:1]
	v_mul_f32_e32 v1, v144, v3
	v_fmac_f32_e32 v1, v143, v2
	v_cvt_f64_f32_e32 v[12:13], v1
	v_mul_f32_e32 v1, v144, v2
	v_fma_f32 v1, v143, v3, -v1
	v_cvt_f64_f32_e32 v[2:3], v1
	v_cvt_f32_f64_e32 v1, v[6:7]
	global_store_dwordx2 v[10:11], v[14:15], off
	v_mov_b32_e32 v14, s3
	v_add_co_u32_e32 v10, vcc, s5, v10
	v_addc_co_u32_e32 v11, vcc, v11, v14, vcc
	v_mul_f64 v[6:7], v[12:13], s[0:1]
	v_mul_f64 v[2:3], v[2:3], s[0:1]
	global_store_dwordx2 v[10:11], v[0:1], off
	v_mul_f32_e32 v0, v111, v9
	v_fmac_f32_e32 v0, v110, v8
	v_cvt_f64_f32_e32 v[0:1], v0
	v_mov_b32_e32 v14, s4
	v_add_co_u32_e32 v10, vcc, s2, v10
	v_mul_f64 v[12:13], v[0:1], s[0:1]
	v_mul_f32_e32 v0, v111, v8
	v_fma_f32 v0, v110, v9, -v0
	v_cvt_f32_f64_e32 v6, v[6:7]
	v_cvt_f32_f64_e32 v7, v[2:3]
	v_cvt_f64_f32_e32 v[8:9], v0
	ds_read2_b64 v[0:3], v19 offset0:160 offset1:216
	v_addc_co_u32_e32 v11, vcc, v11, v14, vcc
	global_store_dwordx2 v[10:11], v[6:7], off
	v_mul_f64 v[6:7], v[8:9], s[0:1]
	s_waitcnt lgkmcnt(0)
	v_mul_f32_e32 v8, v140, v1
	v_fmac_f32_e32 v8, v139, v0
	v_cvt_f64_f32_e32 v[8:9], v8
	v_mul_f32_e32 v0, v140, v0
	v_fma_f32 v0, v139, v1, -v0
	v_cvt_f32_f64_e32 v12, v[12:13]
	v_cvt_f64_f32_e32 v[0:1], v0
	v_cvt_f32_f64_e32 v13, v[6:7]
	v_add_u32_e32 v6, 0x400, v159
	v_mul_f64 v[14:15], v[8:9], s[0:1]
	ds_read2_b64 v[6:9], v6 offset0:96 offset1:152
	v_mov_b32_e32 v19, s3
	v_mul_f64 v[0:1], v[0:1], s[0:1]
	v_add_co_u32_e32 v10, vcc, s5, v10
	v_addc_co_u32_e32 v11, vcc, v11, v19, vcc
	global_store_dwordx2 v[10:11], v[12:13], off
	s_waitcnt lgkmcnt(0)
	v_mul_f32_e32 v12, v138, v7
	v_fmac_f32_e32 v12, v137, v6
	v_cvt_f64_f32_e32 v[12:13], v12
	v_mul_f32_e32 v6, v138, v6
	v_fma_f32 v6, v137, v7, -v6
	v_cvt_f32_f64_e32 v14, v[14:15]
	v_cvt_f32_f64_e32 v15, v[0:1]
	v_mul_f64 v[0:1], v[12:13], s[0:1]
	v_cvt_f64_f32_e32 v[6:7], v6
	v_mov_b32_e32 v19, s4
	v_add_co_u32_e32 v10, vcc, s2, v10
	v_mul_f64 v[6:7], v[6:7], s[0:1]
	v_addc_co_u32_e32 v11, vcc, v11, v19, vcc
	v_cvt_f32_f64_e32 v0, v[0:1]
	v_mul_f32_e32 v1, v136, v3
	v_fmac_f32_e32 v1, v135, v2
	v_cvt_f64_f32_e32 v[12:13], v1
	v_mul_f32_e32 v1, v136, v2
	v_fma_f32 v1, v135, v3, -v1
	v_cvt_f64_f32_e32 v[2:3], v1
	v_cvt_f32_f64_e32 v1, v[6:7]
	global_store_dwordx2 v[10:11], v[14:15], off
	v_mov_b32_e32 v14, s3
	v_add_co_u32_e32 v10, vcc, s5, v10
	v_addc_co_u32_e32 v11, vcc, v11, v14, vcc
	v_mul_f64 v[6:7], v[12:13], s[0:1]
	v_mul_f64 v[2:3], v[2:3], s[0:1]
	global_store_dwordx2 v[10:11], v[0:1], off
	v_mul_f32_e32 v0, v134, v9
	v_fmac_f32_e32 v0, v133, v8
	v_cvt_f64_f32_e32 v[0:1], v0
	v_add_u32_e32 v19, 0x1800, v159
	v_mov_b32_e32 v14, s4
	v_cvt_f32_f64_e32 v6, v[6:7]
	v_mul_f64 v[12:13], v[0:1], s[0:1]
	v_mul_f32_e32 v0, v134, v8
	v_fma_f32 v0, v133, v9, -v0
	v_cvt_f32_f64_e32 v7, v[2:3]
	v_cvt_f64_f32_e32 v[8:9], v0
	ds_read2_b64 v[0:3], v19 offset0:16 offset1:72
	v_add_co_u32_e32 v10, vcc, s2, v10
	v_addc_co_u32_e32 v11, vcc, v11, v14, vcc
	global_store_dwordx2 v[10:11], v[6:7], off
	v_mul_f64 v[6:7], v[8:9], s[0:1]
	s_waitcnt lgkmcnt(0)
	v_mul_f32_e32 v8, v132, v1
	v_fmac_f32_e32 v8, v131, v0
	v_cvt_f64_f32_e32 v[8:9], v8
	v_mul_f32_e32 v0, v132, v0
	v_fma_f32 v0, v131, v1, -v0
	v_cvt_f64_f32_e32 v[0:1], v0
	v_cvt_f32_f64_e32 v12, v[12:13]
	v_cvt_f32_f64_e32 v13, v[6:7]
	v_mul_f64 v[14:15], v[8:9], s[0:1]
	ds_read2_b64 v[6:9], v16 offset0:80 offset1:136
	v_mov_b32_e32 v20, s3
	v_mul_f64 v[0:1], v[0:1], s[0:1]
	v_add_co_u32_e32 v10, vcc, s5, v10
	v_addc_co_u32_e32 v11, vcc, v11, v20, vcc
	global_store_dwordx2 v[10:11], v[12:13], off
	s_waitcnt lgkmcnt(0)
	v_mul_f32_e32 v12, v130, v7
	v_fmac_f32_e32 v12, v129, v6
	v_cvt_f64_f32_e32 v[12:13], v12
	v_mul_f32_e32 v6, v130, v6
	v_fma_f32 v6, v129, v7, -v6
	v_cvt_f32_f64_e32 v14, v[14:15]
	v_cvt_f32_f64_e32 v15, v[0:1]
	v_mul_f64 v[0:1], v[12:13], s[0:1]
	v_cvt_f64_f32_e32 v[6:7], v6
	v_mov_b32_e32 v16, s4
	v_add_co_u32_e32 v10, vcc, s2, v10
	v_mul_f64 v[6:7], v[6:7], s[0:1]
	v_addc_co_u32_e32 v11, vcc, v11, v16, vcc
	v_cvt_f32_f64_e32 v0, v[0:1]
	v_mul_f32_e32 v1, v126, v3
	v_fmac_f32_e32 v1, v125, v2
	v_cvt_f64_f32_e32 v[12:13], v1
	v_mul_f32_e32 v1, v126, v2
	v_fma_f32 v1, v125, v3, -v1
	v_cvt_f64_f32_e32 v[2:3], v1
	v_cvt_f32_f64_e32 v1, v[6:7]
	global_store_dwordx2 v[10:11], v[14:15], off
	v_mov_b32_e32 v14, s3
	v_add_co_u32_e32 v10, vcc, s5, v10
	v_addc_co_u32_e32 v11, vcc, v11, v14, vcc
	v_mul_f64 v[6:7], v[12:13], s[0:1]
	v_mul_f64 v[2:3], v[2:3], s[0:1]
	global_store_dwordx2 v[10:11], v[0:1], off
	v_mul_f32_e32 v0, v124, v9
	v_fmac_f32_e32 v0, v123, v8
	v_cvt_f64_f32_e32 v[0:1], v0
	v_mov_b32_e32 v14, s4
	v_add_co_u32_e32 v10, vcc, s2, v10
	v_mul_f64 v[12:13], v[0:1], s[0:1]
	v_mul_f32_e32 v0, v124, v8
	v_fma_f32 v0, v123, v9, -v0
	v_cvt_f32_f64_e32 v6, v[6:7]
	v_cvt_f32_f64_e32 v7, v[2:3]
	v_cvt_f64_f32_e32 v[8:9], v0
	ds_read2_b64 v[0:3], v19 offset0:128 offset1:184
	v_addc_co_u32_e32 v11, vcc, v11, v14, vcc
	global_store_dwordx2 v[10:11], v[6:7], off
	v_mul_f64 v[6:7], v[8:9], s[0:1]
	s_waitcnt lgkmcnt(0)
	v_mul_f32_e32 v9, v118, v1
	v_fmac_f32_e32 v9, v117, v0
	v_mul_f32_e32 v0, v118, v0
	v_fma_f32 v0, v117, v1, -v0
	v_cvt_f32_f64_e32 v8, v[12:13]
	v_cvt_f64_f32_e32 v[12:13], v9
	v_cvt_f64_f32_e32 v[0:1], v0
	v_cvt_f32_f64_e32 v9, v[6:7]
	v_mov_b32_e32 v14, s3
	v_mul_f64 v[6:7], v[12:13], s[0:1]
	v_mul_f64 v[0:1], v[0:1], s[0:1]
	v_add_co_u32_e32 v10, vcc, s5, v10
	v_addc_co_u32_e32 v11, vcc, v11, v14, vcc
	global_store_dwordx2 v[10:11], v[8:9], off
	v_mad_u64_u32 v[8:9], s[2:3], s8, v161, 0
	v_cvt_f32_f64_e32 v6, v[6:7]
	v_cvt_f32_f64_e32 v7, v[0:1]
	v_mov_b32_e32 v0, v9
	v_mad_u64_u32 v[0:1], s[2:3], s9, v161, v[0:1]
	v_mul_f32_e32 v1, v109, v5
	v_fmac_f32_e32 v1, v108, v4
	v_cvt_f64_f32_e32 v[12:13], v1
	v_mul_f32_e32 v1, v109, v4
	v_fma_f32 v1, v108, v5, -v1
	v_cvt_f64_f32_e32 v[4:5], v1
	v_mov_b32_e32 v9, v0
	v_lshlrev_b64 v[0:1], 3, v[8:9]
	v_mul_f64 v[8:9], v[12:13], s[0:1]
	v_mul_f64 v[4:5], v[4:5], s[0:1]
	v_add_co_u32_e32 v0, vcc, v17, v0
	v_addc_co_u32_e32 v1, vcc, v18, v1, vcc
	global_store_dwordx2 v[0:1], v[6:7], off
	v_mad_u64_u32 v[0:1], s[2:3], s8, v160, 0
	v_cvt_f32_f64_e32 v7, v[4:5]
	v_cvt_f32_f64_e32 v6, v[8:9]
	v_mad_u64_u32 v[4:5], s[2:3], s9, v160, v[1:2]
	v_mul_f32_e32 v1, v113, v3
	v_fmac_f32_e32 v1, v112, v2
	v_cvt_f64_f32_e32 v[8:9], v1
	v_mul_f32_e32 v1, v113, v2
	v_fma_f32 v1, v112, v3, -v1
	v_cvt_f64_f32_e32 v[2:3], v1
	v_mul_f64 v[8:9], v[8:9], s[0:1]
	v_mov_b32_e32 v5, 0x1180
	v_mov_b32_e32 v1, v4
	v_mul_f64 v[2:3], v[2:3], s[0:1]
	v_lshlrev_b64 v[0:1], 3, v[0:1]
	v_add_co_u32_e32 v0, vcc, v17, v0
	v_cvt_f32_f64_e32 v4, v[8:9]
	v_mad_u64_u32 v[8:9], s[0:1], s8, v5, v[10:11]
	v_cvt_f32_f64_e32 v5, v[2:3]
	s_mul_i32 s0, s9, 0x1180
	v_addc_co_u32_e32 v1, vcc, v18, v1, vcc
	v_add_u32_e32 v9, s0, v9
	global_store_dwordx2 v[0:1], v[6:7], off
	global_store_dwordx2 v[8:9], v[4:5], off
.LBB0_10:
	s_endpgm
	.section	.rodata,"a",@progbits
	.p2align	6, 0x0
	.amdhsa_kernel bluestein_single_fwd_len1008_dim1_sp_op_CI_CI
		.amdhsa_group_segment_fixed_size 8064
		.amdhsa_private_segment_fixed_size 0
		.amdhsa_kernarg_size 104
		.amdhsa_user_sgpr_count 6
		.amdhsa_user_sgpr_private_segment_buffer 1
		.amdhsa_user_sgpr_dispatch_ptr 0
		.amdhsa_user_sgpr_queue_ptr 0
		.amdhsa_user_sgpr_kernarg_segment_ptr 1
		.amdhsa_user_sgpr_dispatch_id 0
		.amdhsa_user_sgpr_flat_scratch_init 0
		.amdhsa_user_sgpr_private_segment_size 0
		.amdhsa_uses_dynamic_stack 0
		.amdhsa_system_sgpr_private_segment_wavefront_offset 0
		.amdhsa_system_sgpr_workgroup_id_x 1
		.amdhsa_system_sgpr_workgroup_id_y 0
		.amdhsa_system_sgpr_workgroup_id_z 0
		.amdhsa_system_sgpr_workgroup_info 0
		.amdhsa_system_vgpr_workitem_id 0
		.amdhsa_next_free_vgpr 250
		.amdhsa_next_free_sgpr 20
		.amdhsa_reserve_vcc 1
		.amdhsa_reserve_flat_scratch 0
		.amdhsa_float_round_mode_32 0
		.amdhsa_float_round_mode_16_64 0
		.amdhsa_float_denorm_mode_32 3
		.amdhsa_float_denorm_mode_16_64 3
		.amdhsa_dx10_clamp 1
		.amdhsa_ieee_mode 1
		.amdhsa_fp16_overflow 0
		.amdhsa_exception_fp_ieee_invalid_op 0
		.amdhsa_exception_fp_denorm_src 0
		.amdhsa_exception_fp_ieee_div_zero 0
		.amdhsa_exception_fp_ieee_overflow 0
		.amdhsa_exception_fp_ieee_underflow 0
		.amdhsa_exception_fp_ieee_inexact 0
		.amdhsa_exception_int_div_zero 0
	.end_amdhsa_kernel
	.text
.Lfunc_end0:
	.size	bluestein_single_fwd_len1008_dim1_sp_op_CI_CI, .Lfunc_end0-bluestein_single_fwd_len1008_dim1_sp_op_CI_CI
                                        ; -- End function
	.section	.AMDGPU.csdata,"",@progbits
; Kernel info:
; codeLenInByte = 17248
; NumSgprs: 24
; NumVgprs: 250
; ScratchSize: 0
; MemoryBound: 0
; FloatMode: 240
; IeeeMode: 1
; LDSByteSize: 8064 bytes/workgroup (compile time only)
; SGPRBlocks: 2
; VGPRBlocks: 62
; NumSGPRsForWavesPerEU: 24
; NumVGPRsForWavesPerEU: 250
; Occupancy: 1
; WaveLimiterHint : 1
; COMPUTE_PGM_RSRC2:SCRATCH_EN: 0
; COMPUTE_PGM_RSRC2:USER_SGPR: 6
; COMPUTE_PGM_RSRC2:TRAP_HANDLER: 0
; COMPUTE_PGM_RSRC2:TGID_X_EN: 1
; COMPUTE_PGM_RSRC2:TGID_Y_EN: 0
; COMPUTE_PGM_RSRC2:TGID_Z_EN: 0
; COMPUTE_PGM_RSRC2:TIDIG_COMP_CNT: 0
	.type	__hip_cuid_6a470c2171521dd0,@object ; @__hip_cuid_6a470c2171521dd0
	.section	.bss,"aw",@nobits
	.globl	__hip_cuid_6a470c2171521dd0
__hip_cuid_6a470c2171521dd0:
	.byte	0                               ; 0x0
	.size	__hip_cuid_6a470c2171521dd0, 1

	.ident	"AMD clang version 19.0.0git (https://github.com/RadeonOpenCompute/llvm-project roc-6.4.0 25133 c7fe45cf4b819c5991fe208aaa96edf142730f1d)"
	.section	".note.GNU-stack","",@progbits
	.addrsig
	.addrsig_sym __hip_cuid_6a470c2171521dd0
	.amdgpu_metadata
---
amdhsa.kernels:
  - .args:
      - .actual_access:  read_only
        .address_space:  global
        .offset:         0
        .size:           8
        .value_kind:     global_buffer
      - .actual_access:  read_only
        .address_space:  global
        .offset:         8
        .size:           8
        .value_kind:     global_buffer
      - .actual_access:  read_only
        .address_space:  global
        .offset:         16
        .size:           8
        .value_kind:     global_buffer
      - .actual_access:  read_only
        .address_space:  global
        .offset:         24
        .size:           8
        .value_kind:     global_buffer
      - .actual_access:  read_only
        .address_space:  global
        .offset:         32
        .size:           8
        .value_kind:     global_buffer
      - .offset:         40
        .size:           8
        .value_kind:     by_value
      - .address_space:  global
        .offset:         48
        .size:           8
        .value_kind:     global_buffer
      - .address_space:  global
        .offset:         56
        .size:           8
        .value_kind:     global_buffer
      - .address_space:  global
        .offset:         64
        .size:           8
        .value_kind:     global_buffer
      - .address_space:  global
        .offset:         72
        .size:           8
        .value_kind:     global_buffer
      - .offset:         80
        .size:           4
        .value_kind:     by_value
      - .address_space:  global
        .offset:         88
        .size:           8
        .value_kind:     global_buffer
      - .address_space:  global
        .offset:         96
        .size:           8
        .value_kind:     global_buffer
    .group_segment_fixed_size: 8064
    .kernarg_segment_align: 8
    .kernarg_segment_size: 104
    .language:       OpenCL C
    .language_version:
      - 2
      - 0
    .max_flat_workgroup_size: 56
    .name:           bluestein_single_fwd_len1008_dim1_sp_op_CI_CI
    .private_segment_fixed_size: 0
    .sgpr_count:     24
    .sgpr_spill_count: 0
    .symbol:         bluestein_single_fwd_len1008_dim1_sp_op_CI_CI.kd
    .uniform_work_group_size: 1
    .uses_dynamic_stack: false
    .vgpr_count:     250
    .vgpr_spill_count: 0
    .wavefront_size: 64
amdhsa.target:   amdgcn-amd-amdhsa--gfx906
amdhsa.version:
  - 1
  - 2
...

	.end_amdgpu_metadata
